;; amdgpu-corpus repo=zjin-lcf/HeCBench kind=compiled arch=gfx1100 opt=O3
	.text
	.amdgcn_target "amdgcn-amd-amdhsa--gfx1100"
	.amdhsa_code_object_version 6
	.protected	_Z14genScoreKerneliPfPKiPKf ; -- Begin function _Z14genScoreKerneliPfPKiPKf
	.globl	_Z14genScoreKerneliPfPKiPKf
	.p2align	8
	.type	_Z14genScoreKerneliPfPKiPKf,@function
_Z14genScoreKerneliPfPKiPKf:            ; @_Z14genScoreKerneliPfPKiPKf
; %bb.0:
	s_load_b32 s16, s[0:1], 0x0
	s_mov_b32 s4, 0
	v_lshl_add_u32 v5, s15, 8, v0
	s_mov_b32 s5, s4
	s_mov_b32 s6, s4
	s_mov_b32 s7, s4
	v_dual_mov_b32 v10, 0 :: v_dual_mov_b32 v1, s4
	v_dual_mov_b32 v2, s5 :: v_dual_mov_b32 v3, s6
	v_mov_b32_e32 v4, s7
	s_clause 0xb
	scratch_store_b32 off, v10, off offset:176
	scratch_store_b128 off, v[1:4], off offset:160
	scratch_store_b128 off, v[1:4], off offset:144
	;; [unrolled: 1-line block ×10, first 2 shown]
	scratch_store_b128 off, v[1:4], off
	s_mov_b32 s2, exec_lo
	s_waitcnt lgkmcnt(0)
	v_cmpx_gt_i32_e64 s16, v5
	s_cbranch_execz .LBB0_193
; %bb.1:
	v_mov_b32_e32 v11, -1
	s_mov_b32 s3, exec_lo
	s_delay_alu instid0(VALU_DEP_1)
	v_mov_b32_e32 v12, v11
	v_mov_b32_e32 v13, v11
	;; [unrolled: 1-line block ×3, first 2 shown]
	v_cmpx_ne_u32_e32 0, v5
	s_cbranch_execz .LBB0_39
; %bb.2:
	v_mov_b32_e32 v0, 1
	v_mov_b32_e32 v2, 0
	s_mov_b32 s2, exec_lo
	v_cmpx_lt_i32_e32 0, v5
	s_cbranch_execz .LBB0_10
; %bb.3:
	s_mov_b32 s5, 1
	s_mov_b32 s6, 0
	s_set_inst_prefetch_distance 0x1
	.p2align	6
.LBB0_4:                                ; =>This Loop Header: Depth=1
                                        ;     Child Loop BB0_5 Depth 2
                                        ;     Child Loop BB0_7 Depth 2
	s_mov_b32 s8, 44
	s_mov_b32 s7, 1
.LBB0_5:                                ;   Parent Loop BB0_4 Depth=1
                                        ; =>  This Inner Loop Header: Depth=2
	s_delay_alu instid0(SALU_CYCLE_1) | instskip(SKIP_1) | instid1(SALU_CYCLE_1)
	s_mul_i32 s7, s7, s8
	s_add_i32 s8, s8, -1
	s_add_i32 s9, s5, s8
	s_delay_alu instid0(SALU_CYCLE_1)
	s_cmp_lg_u32 s9, 44
	s_cbranch_scc1 .LBB0_5
; %bb.6:                                ;   in Loop: Header=BB0_4 Depth=1
	s_mov_b32 s8, s5
	.p2align	6
.LBB0_7:                                ;   Parent Loop BB0_4 Depth=1
                                        ; =>  This Inner Loop Header: Depth=2
	s_delay_alu instid0(SALU_CYCLE_1) | instskip(SKIP_4) | instid1(SALU_CYCLE_1)
	s_abs_i32 s9, s8
	s_abs_i32 s12, s7
	v_cvt_f32_u32_e32 v0, s9
	s_sub_i32 s11, 0, s9
	s_xor_b32 s7, s7, s8
	s_ashr_i32 s7, s7, 31
	s_delay_alu instid0(VALU_DEP_1) | instskip(SKIP_2) | instid1(VALU_DEP_1)
	v_rcp_iflag_f32_e32 v0, v0
	s_waitcnt_depctr 0xfff
	v_mul_f32_e32 v0, 0x4f7ffffe, v0
	v_cvt_u32_f32_e32 v0, v0
	s_delay_alu instid0(VALU_DEP_1) | instskip(NEXT) | instid1(VALU_DEP_1)
	v_readfirstlane_b32 s10, v0
	s_mul_i32 s11, s11, s10
	s_delay_alu instid0(SALU_CYCLE_1) | instskip(NEXT) | instid1(SALU_CYCLE_1)
	s_mul_hi_u32 s11, s10, s11
	s_add_i32 s10, s10, s11
	s_delay_alu instid0(SALU_CYCLE_1) | instskip(NEXT) | instid1(SALU_CYCLE_1)
	s_mul_hi_u32 s10, s12, s10
	s_mul_i32 s11, s10, s9
	s_delay_alu instid0(SALU_CYCLE_1)
	s_sub_i32 s11, s12, s11
	s_add_i32 s12, s10, 1
	s_sub_i32 s13, s11, s9
	s_cmp_ge_u32 s11, s9
	s_cselect_b32 s10, s12, s10
	s_cselect_b32 s11, s13, s11
	s_add_i32 s12, s10, 1
	s_cmp_ge_u32 s11, s9
	s_cselect_b32 s9, s12, s10
	s_add_i32 s8, s8, -1
	s_xor_b32 s9, s9, s7
	s_delay_alu instid0(SALU_CYCLE_1)
	s_sub_i32 s7, s9, s7
	s_cmp_lg_u32 s8, 0
	s_cbranch_scc1 .LBB0_7
; %bb.8:                                ;   in Loop: Header=BB0_4 Depth=1
	s_add_i32 s6, s7, s6
	s_add_i32 s5, s5, 1
	v_cmp_ge_i32_e32 vcc_lo, s6, v5
	v_mov_b32_e32 v0, s5
	v_mov_b32_e32 v2, s6
	s_or_b32 s4, vcc_lo, s4
	s_delay_alu instid0(SALU_CYCLE_1)
	s_and_not1_b32 exec_lo, exec_lo, s4
	s_cbranch_execnz .LBB0_4
; %bb.9:
	s_set_inst_prefetch_distance 0x2
	s_or_b32 exec_lo, exec_lo, s4
.LBB0_10:
	s_delay_alu instid0(SALU_CYCLE_1)
	s_or_b32 exec_lo, exec_lo, s2
	v_cmp_lt_u32_e32 vcc_lo, 1, v0
	v_mov_b32_e32 v3, 1
	s_mov_b32 s5, 1
	s_and_saveexec_b32 s4, vcc_lo
	s_cbranch_execz .LBB0_14
; %bb.11:
	v_sub_nc_u32_e32 v1, 0, v0
	s_mov_b32 s6, 0
	s_mov_b32 s7, -1
.LBB0_12:                               ; =>This Inner Loop Header: Depth=1
	s_delay_alu instid0(SALU_CYCLE_1) | instskip(SKIP_4) | instid1(VALU_DEP_2)
	s_add_i32 s8, s7, 45
	s_add_i32 s7, s7, -1
	s_mul_i32 s5, s5, s8
	v_cmp_eq_u32_e64 s2, s7, v1
	v_mov_b32_e32 v3, s5
	s_or_b32 s6, s2, s6
	s_delay_alu instid0(SALU_CYCLE_1)
	s_and_not1_b32 exec_lo, exec_lo, s6
	s_cbranch_execnz .LBB0_12
; %bb.13:
	s_or_b32 exec_lo, exec_lo, s6
.LBB0_14:
	s_delay_alu instid0(SALU_CYCLE_1)
	s_or_b32 exec_lo, exec_lo, s4
	v_add_nc_u32_e32 v1, -1, v0
	s_and_saveexec_b32 s2, vcc_lo
	s_cbranch_execz .LBB0_18
; %bb.15:
	s_delay_alu instid0(VALU_DEP_1)
	v_mov_b32_e32 v4, v1
	s_mov_b32 s4, 0
	s_set_inst_prefetch_distance 0x1
	.p2align	6
.LBB0_16:                               ; =>This Inner Loop Header: Depth=1
	s_delay_alu instid0(VALU_DEP_1) | instskip(NEXT) | instid1(VALU_DEP_2)
	v_sub_nc_u32_e32 v6, 0, v4
	v_sub_nc_u32_e32 v9, 0, v3
	s_delay_alu instid0(VALU_DEP_2) | instskip(NEXT) | instid1(VALU_DEP_2)
	v_max_i32_e32 v6, v4, v6
	v_max_i32_e32 v9, v3, v9
	v_xor_b32_e32 v3, v3, v4
	v_add_nc_u32_e32 v4, -1, v4
	s_delay_alu instid0(VALU_DEP_4) | instskip(SKIP_1) | instid1(VALU_DEP_4)
	v_cvt_f32_u32_e32 v7, v6
	v_sub_nc_u32_e32 v8, 0, v6
	v_ashrrev_i32_e32 v3, 31, v3
	s_delay_alu instid0(VALU_DEP_3) | instskip(SKIP_2) | instid1(VALU_DEP_1)
	v_rcp_iflag_f32_e32 v7, v7
	s_waitcnt_depctr 0xfff
	v_mul_f32_e32 v7, 0x4f7ffffe, v7
	v_cvt_u32_f32_e32 v7, v7
	s_delay_alu instid0(VALU_DEP_1) | instskip(NEXT) | instid1(VALU_DEP_1)
	v_mul_lo_u32 v8, v8, v7
	v_mul_hi_u32 v8, v7, v8
	s_delay_alu instid0(VALU_DEP_1) | instskip(NEXT) | instid1(VALU_DEP_1)
	v_add_nc_u32_e32 v7, v7, v8
	v_mul_hi_u32 v7, v9, v7
	s_delay_alu instid0(VALU_DEP_1) | instskip(SKIP_1) | instid1(VALU_DEP_2)
	v_mul_lo_u32 v8, v7, v6
	v_add_nc_u32_e32 v10, 1, v7
	v_sub_nc_u32_e32 v8, v9, v8
	s_delay_alu instid0(VALU_DEP_1) | instskip(SKIP_1) | instid1(VALU_DEP_2)
	v_sub_nc_u32_e32 v9, v8, v6
	v_cmp_ge_u32_e32 vcc_lo, v8, v6
	v_dual_cndmask_b32 v8, v8, v9 :: v_dual_cndmask_b32 v7, v7, v10
	s_delay_alu instid0(VALU_DEP_1) | instskip(NEXT) | instid1(VALU_DEP_2)
	v_cmp_ge_u32_e32 vcc_lo, v8, v6
	v_add_nc_u32_e32 v9, 1, v7
	s_delay_alu instid0(VALU_DEP_1) | instskip(SKIP_1) | instid1(VALU_DEP_2)
	v_cndmask_b32_e32 v6, v7, v9, vcc_lo
	v_cmp_eq_u32_e32 vcc_lo, 0, v4
	v_xor_b32_e32 v6, v6, v3
	s_or_b32 s4, vcc_lo, s4
	s_delay_alu instid0(VALU_DEP_1)
	v_sub_nc_u32_e32 v3, v6, v3
	s_and_not1_b32 exec_lo, exec_lo, s4
	s_cbranch_execnz .LBB0_16
; %bb.17:
	s_set_inst_prefetch_distance 0x2
	s_or_b32 exec_lo, exec_lo, s4
.LBB0_18:
	s_delay_alu instid0(SALU_CYCLE_1) | instskip(SKIP_4) | instid1(VALU_DEP_4)
	s_or_b32 exec_lo, exec_lo, s2
	v_sub_nc_u32_e32 v2, v5, v2
	v_dual_mov_b32 v10, 0 :: v_dual_mov_b32 v9, 0
	v_mov_b32_e32 v8, 0
	v_mov_b32_e32 v6, 0
	v_dual_mov_b32 v7, 0 :: v_dual_add_nc_u32 v4, v3, v2
	v_dual_mov_b32 v3, 0 :: v_dual_mov_b32 v2, 0
	s_mov_b32 s5, 0
	s_mov_b32 s4, exec_lo
	v_cmpx_lt_i32_e32 2, v0
	s_cbranch_execz .LBB0_34
; %bb.19:
	v_dual_mov_b32 v7, 0 :: v_dual_add_nc_u32 v2, -2, v0
	v_dual_mov_b32 v11, 44 :: v_dual_mov_b32 v6, 0
	s_delay_alu instid0(VALU_DEP_2)
	v_dual_mov_b32 v3, 0 :: v_dual_mov_b32 v12, v2
	v_dual_mov_b32 v8, 0 :: v_dual_mov_b32 v9, 0
	v_mov_b32_e32 v10, 0
	s_mov_b32 s2, 0
.LBB0_20:                               ; =>This Loop Header: Depth=1
                                        ;     Child Loop BB0_22 Depth 2
                                        ;       Child Loop BB0_23 Depth 3
                                        ;       Child Loop BB0_25 Depth 3
                                        ;     Child Loop BB0_29 Depth 2
                                        ;     Child Loop BB0_31 Depth 2
	v_dual_mov_b32 v14, 0 :: v_dual_add_nc_u32 v1, -1, v1
	v_mov_b32_e32 v13, 0
	s_mov_b32 s7, 0
	s_mov_b32 s6, exec_lo
	v_cmpx_lt_i32_e32 0, v4
	s_cbranch_execz .LBB0_28
; %bb.21:                               ;   in Loop: Header=BB0_20 Depth=1
	v_mov_b32_e32 v13, 0
	s_mov_b32 s8, 1
.LBB0_22:                               ;   Parent Loop BB0_20 Depth=1
                                        ; =>  This Loop Header: Depth=2
                                        ;       Child Loop BB0_23 Depth 3
                                        ;       Child Loop BB0_25 Depth 3
	s_delay_alu instid0(SALU_CYCLE_1)
	v_subrev_nc_u32_e32 v15, s8, v11
	v_mov_b32_e32 v14, 1
	v_mov_b32_e32 v16, v12
	s_mov_b32 s9, 0
.LBB0_23:                               ;   Parent Loop BB0_20 Depth=1
                                        ;     Parent Loop BB0_22 Depth=2
                                        ; =>    This Inner Loop Header: Depth=3
	s_delay_alu instid0(VALU_DEP_1) | instskip(NEXT) | instid1(VALU_DEP_3)
	v_add_nc_u32_e32 v16, -1, v16
	v_mul_lo_u32 v14, v14, v15
	v_add_nc_u32_e32 v15, -1, v15
	s_delay_alu instid0(VALU_DEP_3) | instskip(SKIP_1) | instid1(SALU_CYCLE_1)
	v_cmp_eq_u32_e32 vcc_lo, 0, v16
	s_or_b32 s9, vcc_lo, s9
	s_and_not1_b32 exec_lo, exec_lo, s9
	s_cbranch_execnz .LBB0_23
; %bb.24:                               ;   in Loop: Header=BB0_22 Depth=2
	s_or_b32 exec_lo, exec_lo, s9
	v_mov_b32_e32 v15, v1
	s_mov_b32 s9, 0
	s_set_inst_prefetch_distance 0x1
	.p2align	6
.LBB0_25:                               ;   Parent Loop BB0_20 Depth=1
                                        ;     Parent Loop BB0_22 Depth=2
                                        ; =>    This Inner Loop Header: Depth=3
	s_delay_alu instid0(VALU_DEP_1) | instskip(NEXT) | instid1(VALU_DEP_2)
	v_sub_nc_u32_e32 v16, 0, v15
	v_sub_nc_u32_e32 v19, 0, v14
	s_delay_alu instid0(VALU_DEP_2) | instskip(NEXT) | instid1(VALU_DEP_2)
	v_max_i32_e32 v16, v15, v16
	v_max_i32_e32 v19, v14, v19
	v_xor_b32_e32 v14, v14, v15
	v_add_nc_u32_e32 v15, -1, v15
	s_delay_alu instid0(VALU_DEP_4) | instskip(SKIP_1) | instid1(VALU_DEP_4)
	v_cvt_f32_u32_e32 v17, v16
	v_sub_nc_u32_e32 v18, 0, v16
	v_ashrrev_i32_e32 v14, 31, v14
	s_delay_alu instid0(VALU_DEP_3) | instskip(SKIP_2) | instid1(VALU_DEP_1)
	v_rcp_iflag_f32_e32 v17, v17
	s_waitcnt_depctr 0xfff
	v_mul_f32_e32 v17, 0x4f7ffffe, v17
	v_cvt_u32_f32_e32 v17, v17
	s_delay_alu instid0(VALU_DEP_1) | instskip(NEXT) | instid1(VALU_DEP_1)
	v_mul_lo_u32 v18, v18, v17
	v_mul_hi_u32 v18, v17, v18
	s_delay_alu instid0(VALU_DEP_1) | instskip(NEXT) | instid1(VALU_DEP_1)
	v_add_nc_u32_e32 v17, v17, v18
	v_mul_hi_u32 v17, v19, v17
	s_delay_alu instid0(VALU_DEP_1) | instskip(SKIP_1) | instid1(VALU_DEP_2)
	v_mul_lo_u32 v18, v17, v16
	v_add_nc_u32_e32 v20, 1, v17
	v_sub_nc_u32_e32 v18, v19, v18
	s_delay_alu instid0(VALU_DEP_1) | instskip(SKIP_1) | instid1(VALU_DEP_2)
	v_sub_nc_u32_e32 v19, v18, v16
	v_cmp_ge_u32_e32 vcc_lo, v18, v16
	v_dual_cndmask_b32 v18, v18, v19 :: v_dual_cndmask_b32 v17, v17, v20
	s_delay_alu instid0(VALU_DEP_1) | instskip(NEXT) | instid1(VALU_DEP_2)
	v_cmp_ge_u32_e32 vcc_lo, v18, v16
	v_add_nc_u32_e32 v19, 1, v17
	s_delay_alu instid0(VALU_DEP_1) | instskip(SKIP_1) | instid1(VALU_DEP_2)
	v_cndmask_b32_e32 v16, v17, v19, vcc_lo
	v_cmp_eq_u32_e32 vcc_lo, 0, v15
	v_xor_b32_e32 v16, v16, v14
	s_or_b32 s9, vcc_lo, s9
	s_delay_alu instid0(VALU_DEP_1)
	v_sub_nc_u32_e32 v14, v16, v14
	s_and_not1_b32 exec_lo, exec_lo, s9
	s_cbranch_execnz .LBB0_25
; %bb.26:                               ;   in Loop: Header=BB0_22 Depth=2
	s_set_inst_prefetch_distance 0x2
	s_or_b32 exec_lo, exec_lo, s9
	v_dual_mov_b32 v14, s8 :: v_dual_add_nc_u32 v13, v14, v13
	s_add_i32 s8, s8, 1
	s_delay_alu instid0(VALU_DEP_1) | instskip(SKIP_1) | instid1(SALU_CYCLE_1)
	v_cmp_ge_i32_e32 vcc_lo, v13, v4
	s_or_b32 s7, vcc_lo, s7
	s_and_not1_b32 exec_lo, exec_lo, s7
	s_cbranch_execnz .LBB0_22
; %bb.27:                               ;   in Loop: Header=BB0_20 Depth=1
	s_or_b32 exec_lo, exec_lo, s7
.LBB0_28:                               ;   in Loop: Header=BB0_20 Depth=1
	s_delay_alu instid0(SALU_CYCLE_1)
	s_or_b32 exec_lo, exec_lo, s6
	v_sub_nc_u32_e32 v11, v11, v14
	v_mov_b32_e32 v15, 1
	s_mov_b32 s6, 0
	s_mov_b32 s7, 0
.LBB0_29:                               ;   Parent Loop BB0_20 Depth=1
                                        ; =>  This Inner Loop Header: Depth=2
	s_delay_alu instid0(VALU_DEP_2) | instid1(SALU_CYCLE_1)
	v_add_nc_u32_e32 v16, s7, v11
	s_add_i32 s7, s7, -1
	s_delay_alu instid0(SALU_CYCLE_1) | instskip(NEXT) | instid1(VALU_DEP_2)
	v_add_nc_u32_e32 v17, s7, v12
	v_mul_lo_u32 v15, v15, v16
	s_delay_alu instid0(VALU_DEP_2) | instskip(SKIP_1) | instid1(SALU_CYCLE_1)
	v_cmp_eq_u32_e32 vcc_lo, 0, v17
	s_or_b32 s6, vcc_lo, s6
	s_and_not1_b32 exec_lo, exec_lo, s6
	s_cbranch_execnz .LBB0_29
; %bb.30:                               ;   in Loop: Header=BB0_20 Depth=1
	s_or_b32 exec_lo, exec_lo, s6
	v_mov_b32_e32 v16, v1
	s_mov_b32 s6, 0
	s_set_inst_prefetch_distance 0x1
	.p2align	6
.LBB0_31:                               ;   Parent Loop BB0_20 Depth=1
                                        ; =>  This Inner Loop Header: Depth=2
	s_delay_alu instid0(VALU_DEP_1) | instskip(NEXT) | instid1(VALU_DEP_2)
	v_sub_nc_u32_e32 v17, 0, v16
	v_sub_nc_u32_e32 v20, 0, v15
	s_delay_alu instid0(VALU_DEP_2) | instskip(NEXT) | instid1(VALU_DEP_2)
	v_max_i32_e32 v17, v16, v17
	v_max_i32_e32 v20, v15, v20
	v_xor_b32_e32 v15, v15, v16
	v_add_nc_u32_e32 v16, -1, v16
	s_delay_alu instid0(VALU_DEP_4) | instskip(SKIP_1) | instid1(VALU_DEP_4)
	v_cvt_f32_u32_e32 v18, v17
	v_sub_nc_u32_e32 v19, 0, v17
	v_ashrrev_i32_e32 v15, 31, v15
	s_delay_alu instid0(VALU_DEP_3) | instskip(SKIP_2) | instid1(VALU_DEP_1)
	v_rcp_iflag_f32_e32 v18, v18
	s_waitcnt_depctr 0xfff
	v_mul_f32_e32 v18, 0x4f7ffffe, v18
	v_cvt_u32_f32_e32 v18, v18
	s_delay_alu instid0(VALU_DEP_1) | instskip(NEXT) | instid1(VALU_DEP_1)
	v_mul_lo_u32 v19, v19, v18
	v_mul_hi_u32 v19, v18, v19
	s_delay_alu instid0(VALU_DEP_1) | instskip(NEXT) | instid1(VALU_DEP_1)
	v_add_nc_u32_e32 v18, v18, v19
	v_mul_hi_u32 v18, v20, v18
	s_delay_alu instid0(VALU_DEP_1) | instskip(SKIP_1) | instid1(VALU_DEP_2)
	v_mul_lo_u32 v19, v18, v17
	v_add_nc_u32_e32 v21, 1, v18
	v_sub_nc_u32_e32 v19, v20, v19
	s_delay_alu instid0(VALU_DEP_1) | instskip(SKIP_1) | instid1(VALU_DEP_2)
	v_sub_nc_u32_e32 v20, v19, v17
	v_cmp_ge_u32_e32 vcc_lo, v19, v17
	v_dual_cndmask_b32 v19, v19, v20 :: v_dual_cndmask_b32 v18, v18, v21
	s_delay_alu instid0(VALU_DEP_1) | instskip(NEXT) | instid1(VALU_DEP_2)
	v_cmp_ge_u32_e32 vcc_lo, v19, v17
	v_add_nc_u32_e32 v20, 1, v18
	s_delay_alu instid0(VALU_DEP_1) | instskip(SKIP_1) | instid1(VALU_DEP_2)
	v_cndmask_b32_e32 v17, v18, v20, vcc_lo
	v_cmp_eq_u32_e32 vcc_lo, 0, v16
	v_xor_b32_e32 v17, v17, v15
	s_or_b32 s6, vcc_lo, s6
	s_delay_alu instid0(VALU_DEP_1)
	v_sub_nc_u32_e32 v15, v17, v15
	s_and_not1_b32 exec_lo, exec_lo, s6
	s_cbranch_execnz .LBB0_31
; %bb.32:                               ;   in Loop: Header=BB0_20 Depth=1
	s_set_inst_prefetch_distance 0x2
	s_or_b32 exec_lo, exec_lo, s6
	v_add_nc_u32_e32 v7, v14, v7
	s_add_i32 s6, s2, 1
	s_cmp_eq_u32 s2, 0
	v_sub_nc_u32_e32 v4, v4, v13
	s_cselect_b32 vcc_lo, -1, 0
	s_cmp_eq_u32 s2, 1
	v_dual_cndmask_b32 v3, v3, v7 :: v_dual_add_nc_u32 v12, -1, v12
	s_cselect_b32 vcc_lo, -1, 0
	s_cmp_eq_u32 s2, 2
	v_cndmask_b32_e32 v6, v6, v7, vcc_lo
	s_cselect_b32 vcc_lo, -1, 0
	s_cmp_eq_u32 s2, 3
	v_cndmask_b32_e32 v8, v8, v7, vcc_lo
	s_cselect_b32 vcc_lo, -1, 0
	s_cmp_eq_u32 s2, 4
	v_dual_cndmask_b32 v9, v9, v7 :: v_dual_add_nc_u32 v4, v15, v4
	v_cmp_eq_u32_e32 vcc_lo, s6, v2
	s_cselect_b32 s2, -1, 0
	s_delay_alu instid0(SALU_CYCLE_1) | instskip(SKIP_2) | instid1(SALU_CYCLE_1)
	v_cndmask_b32_e64 v10, v10, v7, s2
	s_mov_b32 s2, s6
	s_or_b32 s5, vcc_lo, s5
	s_and_not1_b32 exec_lo, exec_lo, s5
	s_cbranch_execnz .LBB0_20
; %bb.33:
	s_or_b32 exec_lo, exec_lo, s5
.LBB0_34:
	s_delay_alu instid0(SALU_CYCLE_1) | instskip(SKIP_4) | instid1(VALU_DEP_2)
	s_or_b32 exec_lo, exec_lo, s4
	v_add_nc_u32_e32 v1, v7, v4
	v_cmp_eq_u32_e32 vcc_lo, 4, v2
	s_mov_b32 s5, 0
	s_mov_b32 s4, exec_lo
	v_cndmask_b32_e32 v10, v10, v1, vcc_lo
	v_cmp_eq_u32_e32 vcc_lo, 3, v2
	v_cndmask_b32_e32 v11, v9, v1, vcc_lo
	v_cmp_eq_u32_e32 vcc_lo, 2, v2
	;; [unrolled: 2-line block ×4, first 2 shown]
	v_cndmask_b32_e32 v14, v3, v1, vcc_lo
	v_cmpx_gt_u32_e32 3, v2
	s_cbranch_execz .LBB0_38
; %bb.35:
	v_max_i32_e32 v1, 2, v0
	v_mov_b32_e32 v2, 0
	s_delay_alu instid0(VALU_DEP_2)
	v_add_nc_u32_e32 v0, -3, v1
	v_add_nc_u32_e32 v1, -1, v1
	.p2align	6
.LBB0_36:                               ; =>This Inner Loop Header: Depth=1
	s_delay_alu instid0(VALU_DEP_1) | instskip(NEXT) | instid1(VALU_DEP_3)
	v_cmp_ne_u32_e32 vcc_lo, 4, v1
	v_add_nc_u32_e32 v0, 1, v0
	v_cndmask_b32_e32 v10, -1, v10, vcc_lo
	v_cmp_ne_u32_e32 vcc_lo, 3, v1
	v_cndmask_b32_e32 v11, -1, v11, vcc_lo
	v_cmp_ne_u32_e32 vcc_lo, 2, v1
	;; [unrolled: 2-line block ×4, first 2 shown]
	v_add_co_u32 v1, s2, v1, 1
	s_delay_alu instid0(VALU_DEP_1) | instskip(SKIP_3) | instid1(SALU_CYCLE_1)
	v_add_co_ci_u32_e64 v2, s2, 0, v2, s2
	v_cndmask_b32_e32 v14, -1, v14, vcc_lo
	v_cmp_lt_u32_e32 vcc_lo, 1, v0
	s_or_b32 s5, vcc_lo, s5
	s_and_not1_b32 exec_lo, exec_lo, s5
	s_cbranch_execnz .LBB0_36
; %bb.37:
	s_or_b32 exec_lo, exec_lo, s5
.LBB0_38:
	s_delay_alu instid0(SALU_CYCLE_1)
	s_or_b32 exec_lo, exec_lo, s4
.LBB0_39:
	s_delay_alu instid0(SALU_CYCLE_1)
	s_or_b32 exec_lo, exec_lo, s3
	v_cmp_lt_i32_e32 vcc_lo, 0, v12
	s_clause 0x1
	s_load_b128 s[12:15], s[0:1], 0x8
	s_load_b64 s[10:11], s[0:1], 0x18
	v_cmp_lt_i32_e64 s0, 0, v14
	s_mov_b32 s5, 0
	v_or_b32_e64 v15, 0, 8
	v_cndmask_b32_e64 v0, 0, 1, vcc_lo
	v_cmp_lt_i32_e32 vcc_lo, 0, v13
	v_cndmask_b32_e64 v1, 0, 1, s0
	s_mov_b32 s4, s5
	s_mov_b32 s6, s5
	;; [unrolled: 1-line block ×3, first 2 shown]
	v_add_co_ci_u32_e32 v0, vcc_lo, 0, v0, vcc_lo
	v_cmp_lt_i32_e32 vcc_lo, 0, v11
	s_mov_b32 s8, s5
	v_or_b32_e64 v17, 0, 4
	v_dual_mov_b32 v20, 1 :: v_dual_mov_b32 v21, 3
	v_cndmask_b32_e64 v2, 0, 1, vcc_lo
	v_add_co_ci_u32_e32 v16, vcc_lo, v0, v1, vcc_lo
	s_waitcnt lgkmcnt(0)
	s_add_u32 s17, s14, 0xb4
	v_mov_b32_e32 v19, 0
	v_add_co_ci_u32_e64 v18, s0, v0, v2, s0
	v_dual_mov_b32 v0, s4 :: v_dual_mov_b32 v1, s5
	v_cmp_ne_u32_e32 vcc_lo, 0, v16
	v_dual_mov_b32 v2, s6 :: v_dual_mov_b32 v3, s7
	v_mov_b32_e32 v4, s8
	v_dual_mov_b32 v22, 4 :: v_dual_mov_b32 v23, 5
	v_dual_mov_b32 v24, 6 :: v_dual_mov_b32 v25, 7
	v_dual_mov_b32 v26, 8 :: v_dual_mov_b32 v27, 9
	v_dual_mov_b32 v28, 10 :: v_dual_mov_b32 v29, 11
	v_dual_mov_b32 v30, 12 :: v_dual_mov_b32 v31, 13
	v_dual_mov_b32 v32, 14 :: v_dual_mov_b32 v33, 15
	v_dual_mov_b32 v34, 16 :: v_dual_mov_b32 v35, 17
	v_dual_mov_b32 v36, 18 :: v_dual_mov_b32 v37, 19
	v_dual_mov_b32 v38, 20 :: v_dual_mov_b32 v39, 21
	v_dual_mov_b32 v40, 22 :: v_dual_mov_b32 v41, 23
	v_dual_mov_b32 v42, 24 :: v_dual_mov_b32 v43, 25
	v_dual_mov_b32 v44, 26 :: v_dual_mov_b32 v45, 27
	v_dual_mov_b32 v46, 28 :: v_dual_mov_b32 v47, 29
	v_dual_mov_b32 v48, 30 :: v_dual_mov_b32 v49, 31
	v_dual_mov_b32 v50, 32 :: v_dual_mov_b32 v51, 33
	v_dual_mov_b32 v52, 34 :: v_dual_mov_b32 v53, 35
	v_dual_mov_b32 v54, 36 :: v_dual_mov_b32 v55, 37
	v_dual_mov_b32 v56, 38 :: v_dual_mov_b32 v57, 39
	v_dual_mov_b32 v58, 40 :: v_dual_mov_b32 v59, 41
	v_dual_mov_b32 v60, 42 :: v_dual_mov_b32 v61, 43
	v_dual_mov_b32 v62, 44 :: v_dual_mov_b32 v63, 2
	s_addc_u32 s18, s15, 0
	s_add_u32 s19, s14, 0x168
	s_addc_u32 s20, s15, 0
	s_mov_b32 s21, s5
	s_branch .LBB0_41
.LBB0_40:                               ;   in Loop: Header=BB0_41 Depth=1
	s_or_b32 exec_lo, exec_lo, s22
	s_add_i32 s21, s21, 1
	s_delay_alu instid0(SALU_CYCLE_1)
	s_cmp_lg_u32 s21, 45
	s_cbranch_scc0 .LBB0_193
.LBB0_41:                               ; =>This Loop Header: Depth=1
                                        ;     Child Loop BB0_133 Depth 2
                                        ;     Child Loop BB0_138 Depth 2
                                        ;       Child Loop BB0_140 Depth 3
                                        ;       Child Loop BB0_154 Depth 3
	;; [unrolled: 1-line block ×3, first 2 shown]
                                        ;         Child Loop BB0_177 Depth 4
                                        ;         Child Loop BB0_183 Depth 4
	;; [unrolled: 1-line block ×3, first 2 shown]
	v_mov_b32_e32 v6, v17
	s_cmp_eq_u32 s21, 0
	s_mov_b32 s0, 1
	s_cbranch_scc1 .LBB0_43
; %bb.42:                               ;   in Loop: Header=BB0_41 Depth=1
	v_mov_b32_e32 v6, v15
	s_mov_b32 s0, 2
	scratch_store_b32 off, v19, off offset:4
.LBB0_43:                               ;   in Loop: Header=BB0_41 Depth=1
	s_cmp_eq_u32 s21, 1
	s_cbranch_scc0 .LBB0_88
; %bb.44:                               ;   in Loop: Header=BB0_41 Depth=1
	s_cmp_eq_u32 s21, 2
	s_cbranch_scc0 .LBB0_89
.LBB0_45:                               ;   in Loop: Header=BB0_41 Depth=1
	s_cmp_eq_u32 s21, 3
	s_cbranch_scc0 .LBB0_90
.LBB0_46:                               ;   in Loop: Header=BB0_41 Depth=1
	s_cmp_eq_u32 s21, 4
	s_cbranch_scc0 .LBB0_91
.LBB0_47:                               ;   in Loop: Header=BB0_41 Depth=1
	s_cmp_eq_u32 s21, 5
	s_cbranch_scc0 .LBB0_92
.LBB0_48:                               ;   in Loop: Header=BB0_41 Depth=1
	s_cmp_eq_u32 s21, 6
	s_cbranch_scc0 .LBB0_93
.LBB0_49:                               ;   in Loop: Header=BB0_41 Depth=1
	s_cmp_eq_u32 s21, 7
	s_cbranch_scc0 .LBB0_94
.LBB0_50:                               ;   in Loop: Header=BB0_41 Depth=1
	s_cmp_eq_u32 s21, 8
	s_cbranch_scc0 .LBB0_95
.LBB0_51:                               ;   in Loop: Header=BB0_41 Depth=1
	s_cmp_eq_u32 s21, 9
	s_cbranch_scc0 .LBB0_96
.LBB0_52:                               ;   in Loop: Header=BB0_41 Depth=1
	s_cmp_eq_u32 s21, 10
	s_cbranch_scc0 .LBB0_97
.LBB0_53:                               ;   in Loop: Header=BB0_41 Depth=1
	s_cmp_eq_u32 s21, 11
	s_cbranch_scc0 .LBB0_98
.LBB0_54:                               ;   in Loop: Header=BB0_41 Depth=1
	s_cmp_eq_u32 s21, 12
	s_cbranch_scc0 .LBB0_99
.LBB0_55:                               ;   in Loop: Header=BB0_41 Depth=1
	s_cmp_eq_u32 s21, 13
	s_cbranch_scc0 .LBB0_100
.LBB0_56:                               ;   in Loop: Header=BB0_41 Depth=1
	s_cmp_eq_u32 s21, 14
	s_cbranch_scc0 .LBB0_101
.LBB0_57:                               ;   in Loop: Header=BB0_41 Depth=1
	s_cmp_eq_u32 s21, 15
	s_cbranch_scc0 .LBB0_102
.LBB0_58:                               ;   in Loop: Header=BB0_41 Depth=1
	s_cmp_eq_u32 s21, 16
	s_cbranch_scc0 .LBB0_103
.LBB0_59:                               ;   in Loop: Header=BB0_41 Depth=1
	s_cmp_eq_u32 s21, 17
	s_cbranch_scc0 .LBB0_104
.LBB0_60:                               ;   in Loop: Header=BB0_41 Depth=1
	s_cmp_eq_u32 s21, 18
	s_cbranch_scc0 .LBB0_105
.LBB0_61:                               ;   in Loop: Header=BB0_41 Depth=1
	s_cmp_eq_u32 s21, 19
	s_cbranch_scc0 .LBB0_106
.LBB0_62:                               ;   in Loop: Header=BB0_41 Depth=1
	s_cmp_eq_u32 s21, 20
	s_cbranch_scc0 .LBB0_107
.LBB0_63:                               ;   in Loop: Header=BB0_41 Depth=1
	s_cmp_eq_u32 s21, 21
	s_cbranch_scc0 .LBB0_108
.LBB0_64:                               ;   in Loop: Header=BB0_41 Depth=1
	s_cmp_eq_u32 s21, 22
	s_cbranch_scc0 .LBB0_109
.LBB0_65:                               ;   in Loop: Header=BB0_41 Depth=1
	s_cmp_eq_u32 s21, 23
	s_cbranch_scc0 .LBB0_110
.LBB0_66:                               ;   in Loop: Header=BB0_41 Depth=1
	s_cmp_eq_u32 s21, 24
	s_cbranch_scc0 .LBB0_111
.LBB0_67:                               ;   in Loop: Header=BB0_41 Depth=1
	s_cmp_eq_u32 s21, 25
	s_cbranch_scc0 .LBB0_112
.LBB0_68:                               ;   in Loop: Header=BB0_41 Depth=1
	s_cmp_eq_u32 s21, 26
	s_cbranch_scc0 .LBB0_113
.LBB0_69:                               ;   in Loop: Header=BB0_41 Depth=1
	s_cmp_eq_u32 s21, 27
	s_cbranch_scc0 .LBB0_114
.LBB0_70:                               ;   in Loop: Header=BB0_41 Depth=1
	s_cmp_eq_u32 s21, 28
	s_cbranch_scc0 .LBB0_115
.LBB0_71:                               ;   in Loop: Header=BB0_41 Depth=1
	s_cmp_eq_u32 s21, 29
	s_cbranch_scc0 .LBB0_116
.LBB0_72:                               ;   in Loop: Header=BB0_41 Depth=1
	s_cmp_eq_u32 s21, 30
	s_cbranch_scc0 .LBB0_117
.LBB0_73:                               ;   in Loop: Header=BB0_41 Depth=1
	s_cmp_eq_u32 s21, 31
	s_cbranch_scc0 .LBB0_118
.LBB0_74:                               ;   in Loop: Header=BB0_41 Depth=1
	s_cmp_eq_u32 s21, 32
	s_cbranch_scc0 .LBB0_119
.LBB0_75:                               ;   in Loop: Header=BB0_41 Depth=1
	s_cmp_eq_u32 s21, 33
	s_cbranch_scc0 .LBB0_120
.LBB0_76:                               ;   in Loop: Header=BB0_41 Depth=1
	s_cmp_eq_u32 s21, 34
	s_cbranch_scc0 .LBB0_121
.LBB0_77:                               ;   in Loop: Header=BB0_41 Depth=1
	s_cmp_eq_u32 s21, 35
	s_cbranch_scc0 .LBB0_122
.LBB0_78:                               ;   in Loop: Header=BB0_41 Depth=1
	s_cmp_eq_u32 s21, 36
	s_cbranch_scc0 .LBB0_123
.LBB0_79:                               ;   in Loop: Header=BB0_41 Depth=1
	s_cmp_eq_u32 s21, 37
	s_cbranch_scc0 .LBB0_124
.LBB0_80:                               ;   in Loop: Header=BB0_41 Depth=1
	s_cmp_eq_u32 s21, 38
	s_cbranch_scc0 .LBB0_125
.LBB0_81:                               ;   in Loop: Header=BB0_41 Depth=1
	s_cmp_eq_u32 s21, 39
	s_cbranch_scc0 .LBB0_126
.LBB0_82:                               ;   in Loop: Header=BB0_41 Depth=1
	s_cmp_eq_u32 s21, 40
	s_cbranch_scc0 .LBB0_127
.LBB0_83:                               ;   in Loop: Header=BB0_41 Depth=1
	s_cmp_eq_u32 s21, 41
	s_cbranch_scc0 .LBB0_128
.LBB0_84:                               ;   in Loop: Header=BB0_41 Depth=1
	s_cmp_eq_u32 s21, 42
	s_cbranch_scc0 .LBB0_129
.LBB0_85:                               ;   in Loop: Header=BB0_41 Depth=1
	s_cmp_eq_u32 s21, 43
	s_cbranch_scc0 .LBB0_130
.LBB0_86:                               ;   in Loop: Header=BB0_41 Depth=1
	s_cmp_eq_u32 s21, 44
	s_cbranch_scc0 .LBB0_131
.LBB0_87:                               ;   in Loop: Header=BB0_41 Depth=1
	s_and_saveexec_b32 s4, vcc_lo
	s_cbranch_execnz .LBB0_132
	s_branch .LBB0_135
.LBB0_88:                               ;   in Loop: Header=BB0_41 Depth=1
	s_add_i32 s0, s0, 1
	scratch_store_b32 v6, v20, off
	s_cmp_eq_u32 s21, 2
	s_cbranch_scc1 .LBB0_45
.LBB0_89:                               ;   in Loop: Header=BB0_41 Depth=1
	s_lshl_b32 s1, s0, 2
	s_add_i32 s0, s0, 1
	s_add_i32 s1, s1, 0
	scratch_store_b32 off, v63, s1
	s_cmp_eq_u32 s21, 3
	s_cbranch_scc1 .LBB0_46
.LBB0_90:                               ;   in Loop: Header=BB0_41 Depth=1
	s_lshl_b32 s1, s0, 2
	s_add_i32 s0, s0, 1
	s_add_i32 s1, s1, 0
	scratch_store_b32 off, v21, s1
	s_cmp_eq_u32 s21, 4
	s_cbranch_scc1 .LBB0_47
.LBB0_91:                               ;   in Loop: Header=BB0_41 Depth=1
	s_lshl_b32 s1, s0, 2
	s_add_i32 s0, s0, 1
	s_add_i32 s1, s1, 0
	scratch_store_b32 off, v22, s1
	s_cmp_eq_u32 s21, 5
	s_cbranch_scc1 .LBB0_48
.LBB0_92:                               ;   in Loop: Header=BB0_41 Depth=1
	s_lshl_b32 s1, s0, 2
	s_add_i32 s0, s0, 1
	s_add_i32 s1, s1, 0
	scratch_store_b32 off, v23, s1
	s_cmp_eq_u32 s21, 6
	s_cbranch_scc1 .LBB0_49
.LBB0_93:                               ;   in Loop: Header=BB0_41 Depth=1
	s_lshl_b32 s1, s0, 2
	s_add_i32 s0, s0, 1
	s_add_i32 s1, s1, 0
	scratch_store_b32 off, v24, s1
	s_cmp_eq_u32 s21, 7
	s_cbranch_scc1 .LBB0_50
.LBB0_94:                               ;   in Loop: Header=BB0_41 Depth=1
	s_lshl_b32 s1, s0, 2
	s_add_i32 s0, s0, 1
	s_add_i32 s1, s1, 0
	scratch_store_b32 off, v25, s1
	s_cmp_eq_u32 s21, 8
	s_cbranch_scc1 .LBB0_51
.LBB0_95:                               ;   in Loop: Header=BB0_41 Depth=1
	s_lshl_b32 s1, s0, 2
	s_add_i32 s0, s0, 1
	s_add_i32 s1, s1, 0
	scratch_store_b32 off, v26, s1
	s_cmp_eq_u32 s21, 9
	s_cbranch_scc1 .LBB0_52
.LBB0_96:                               ;   in Loop: Header=BB0_41 Depth=1
	s_lshl_b32 s1, s0, 2
	s_add_i32 s0, s0, 1
	s_add_i32 s1, s1, 0
	scratch_store_b32 off, v27, s1
	s_cmp_eq_u32 s21, 10
	s_cbranch_scc1 .LBB0_53
.LBB0_97:                               ;   in Loop: Header=BB0_41 Depth=1
	s_lshl_b32 s1, s0, 2
	s_add_i32 s0, s0, 1
	s_add_i32 s1, s1, 0
	scratch_store_b32 off, v28, s1
	s_cmp_eq_u32 s21, 11
	s_cbranch_scc1 .LBB0_54
.LBB0_98:                               ;   in Loop: Header=BB0_41 Depth=1
	s_lshl_b32 s1, s0, 2
	s_add_i32 s0, s0, 1
	s_add_i32 s1, s1, 0
	scratch_store_b32 off, v29, s1
	s_cmp_eq_u32 s21, 12
	s_cbranch_scc1 .LBB0_55
.LBB0_99:                               ;   in Loop: Header=BB0_41 Depth=1
	s_lshl_b32 s1, s0, 2
	s_add_i32 s0, s0, 1
	s_add_i32 s1, s1, 0
	scratch_store_b32 off, v30, s1
	s_cmp_eq_u32 s21, 13
	s_cbranch_scc1 .LBB0_56
.LBB0_100:                              ;   in Loop: Header=BB0_41 Depth=1
	s_lshl_b32 s1, s0, 2
	s_add_i32 s0, s0, 1
	s_add_i32 s1, s1, 0
	scratch_store_b32 off, v31, s1
	s_cmp_eq_u32 s21, 14
	s_cbranch_scc1 .LBB0_57
.LBB0_101:                              ;   in Loop: Header=BB0_41 Depth=1
	s_lshl_b32 s1, s0, 2
	s_add_i32 s0, s0, 1
	s_add_i32 s1, s1, 0
	scratch_store_b32 off, v32, s1
	s_cmp_eq_u32 s21, 15
	s_cbranch_scc1 .LBB0_58
.LBB0_102:                              ;   in Loop: Header=BB0_41 Depth=1
	s_lshl_b32 s1, s0, 2
	s_add_i32 s0, s0, 1
	s_add_i32 s1, s1, 0
	scratch_store_b32 off, v33, s1
	s_cmp_eq_u32 s21, 16
	s_cbranch_scc1 .LBB0_59
.LBB0_103:                              ;   in Loop: Header=BB0_41 Depth=1
	s_lshl_b32 s1, s0, 2
	s_add_i32 s0, s0, 1
	s_add_i32 s1, s1, 0
	scratch_store_b32 off, v34, s1
	s_cmp_eq_u32 s21, 17
	s_cbranch_scc1 .LBB0_60
.LBB0_104:                              ;   in Loop: Header=BB0_41 Depth=1
	s_lshl_b32 s1, s0, 2
	s_add_i32 s0, s0, 1
	s_add_i32 s1, s1, 0
	scratch_store_b32 off, v35, s1
	s_cmp_eq_u32 s21, 18
	s_cbranch_scc1 .LBB0_61
.LBB0_105:                              ;   in Loop: Header=BB0_41 Depth=1
	s_lshl_b32 s1, s0, 2
	s_add_i32 s0, s0, 1
	s_add_i32 s1, s1, 0
	scratch_store_b32 off, v36, s1
	s_cmp_eq_u32 s21, 19
	s_cbranch_scc1 .LBB0_62
.LBB0_106:                              ;   in Loop: Header=BB0_41 Depth=1
	s_lshl_b32 s1, s0, 2
	s_add_i32 s0, s0, 1
	s_add_i32 s1, s1, 0
	scratch_store_b32 off, v37, s1
	s_cmp_eq_u32 s21, 20
	s_cbranch_scc1 .LBB0_63
.LBB0_107:                              ;   in Loop: Header=BB0_41 Depth=1
	s_lshl_b32 s1, s0, 2
	s_add_i32 s0, s0, 1
	s_add_i32 s1, s1, 0
	scratch_store_b32 off, v38, s1
	s_cmp_eq_u32 s21, 21
	s_cbranch_scc1 .LBB0_64
.LBB0_108:                              ;   in Loop: Header=BB0_41 Depth=1
	s_lshl_b32 s1, s0, 2
	s_add_i32 s0, s0, 1
	s_add_i32 s1, s1, 0
	scratch_store_b32 off, v39, s1
	s_cmp_eq_u32 s21, 22
	s_cbranch_scc1 .LBB0_65
.LBB0_109:                              ;   in Loop: Header=BB0_41 Depth=1
	s_lshl_b32 s1, s0, 2
	s_add_i32 s0, s0, 1
	s_add_i32 s1, s1, 0
	scratch_store_b32 off, v40, s1
	s_cmp_eq_u32 s21, 23
	s_cbranch_scc1 .LBB0_66
.LBB0_110:                              ;   in Loop: Header=BB0_41 Depth=1
	s_lshl_b32 s1, s0, 2
	s_add_i32 s0, s0, 1
	s_add_i32 s1, s1, 0
	scratch_store_b32 off, v41, s1
	s_cmp_eq_u32 s21, 24
	s_cbranch_scc1 .LBB0_67
.LBB0_111:                              ;   in Loop: Header=BB0_41 Depth=1
	s_lshl_b32 s1, s0, 2
	s_add_i32 s0, s0, 1
	s_add_i32 s1, s1, 0
	scratch_store_b32 off, v42, s1
	s_cmp_eq_u32 s21, 25
	s_cbranch_scc1 .LBB0_68
.LBB0_112:                              ;   in Loop: Header=BB0_41 Depth=1
	s_lshl_b32 s1, s0, 2
	s_add_i32 s0, s0, 1
	s_add_i32 s1, s1, 0
	scratch_store_b32 off, v43, s1
	s_cmp_eq_u32 s21, 26
	s_cbranch_scc1 .LBB0_69
.LBB0_113:                              ;   in Loop: Header=BB0_41 Depth=1
	s_lshl_b32 s1, s0, 2
	s_add_i32 s0, s0, 1
	s_add_i32 s1, s1, 0
	scratch_store_b32 off, v44, s1
	s_cmp_eq_u32 s21, 27
	s_cbranch_scc1 .LBB0_70
.LBB0_114:                              ;   in Loop: Header=BB0_41 Depth=1
	s_lshl_b32 s1, s0, 2
	s_add_i32 s0, s0, 1
	s_add_i32 s1, s1, 0
	scratch_store_b32 off, v45, s1
	s_cmp_eq_u32 s21, 28
	s_cbranch_scc1 .LBB0_71
.LBB0_115:                              ;   in Loop: Header=BB0_41 Depth=1
	s_lshl_b32 s1, s0, 2
	s_add_i32 s0, s0, 1
	s_add_i32 s1, s1, 0
	scratch_store_b32 off, v46, s1
	s_cmp_eq_u32 s21, 29
	s_cbranch_scc1 .LBB0_72
.LBB0_116:                              ;   in Loop: Header=BB0_41 Depth=1
	s_lshl_b32 s1, s0, 2
	s_add_i32 s0, s0, 1
	s_add_i32 s1, s1, 0
	scratch_store_b32 off, v47, s1
	s_cmp_eq_u32 s21, 30
	s_cbranch_scc1 .LBB0_73
.LBB0_117:                              ;   in Loop: Header=BB0_41 Depth=1
	s_lshl_b32 s1, s0, 2
	s_add_i32 s0, s0, 1
	s_add_i32 s1, s1, 0
	scratch_store_b32 off, v48, s1
	s_cmp_eq_u32 s21, 31
	s_cbranch_scc1 .LBB0_74
.LBB0_118:                              ;   in Loop: Header=BB0_41 Depth=1
	s_lshl_b32 s1, s0, 2
	s_add_i32 s0, s0, 1
	s_add_i32 s1, s1, 0
	scratch_store_b32 off, v49, s1
	s_cmp_eq_u32 s21, 32
	s_cbranch_scc1 .LBB0_75
.LBB0_119:                              ;   in Loop: Header=BB0_41 Depth=1
	s_lshl_b32 s1, s0, 2
	s_add_i32 s0, s0, 1
	s_add_i32 s1, s1, 0
	scratch_store_b32 off, v50, s1
	s_cmp_eq_u32 s21, 33
	s_cbranch_scc1 .LBB0_76
.LBB0_120:                              ;   in Loop: Header=BB0_41 Depth=1
	s_lshl_b32 s1, s0, 2
	s_add_i32 s0, s0, 1
	s_add_i32 s1, s1, 0
	scratch_store_b32 off, v51, s1
	s_cmp_eq_u32 s21, 34
	s_cbranch_scc1 .LBB0_77
.LBB0_121:                              ;   in Loop: Header=BB0_41 Depth=1
	s_lshl_b32 s1, s0, 2
	s_add_i32 s0, s0, 1
	s_add_i32 s1, s1, 0
	scratch_store_b32 off, v52, s1
	s_cmp_eq_u32 s21, 35
	s_cbranch_scc1 .LBB0_78
.LBB0_122:                              ;   in Loop: Header=BB0_41 Depth=1
	s_lshl_b32 s1, s0, 2
	s_add_i32 s0, s0, 1
	s_add_i32 s1, s1, 0
	scratch_store_b32 off, v53, s1
	s_cmp_eq_u32 s21, 36
	s_cbranch_scc1 .LBB0_79
.LBB0_123:                              ;   in Loop: Header=BB0_41 Depth=1
	s_lshl_b32 s1, s0, 2
	s_add_i32 s0, s0, 1
	s_add_i32 s1, s1, 0
	scratch_store_b32 off, v54, s1
	s_cmp_eq_u32 s21, 37
	s_cbranch_scc1 .LBB0_80
.LBB0_124:                              ;   in Loop: Header=BB0_41 Depth=1
	s_lshl_b32 s1, s0, 2
	s_add_i32 s0, s0, 1
	s_add_i32 s1, s1, 0
	scratch_store_b32 off, v55, s1
	s_cmp_eq_u32 s21, 38
	s_cbranch_scc1 .LBB0_81
.LBB0_125:                              ;   in Loop: Header=BB0_41 Depth=1
	s_lshl_b32 s1, s0, 2
	s_add_i32 s0, s0, 1
	s_add_i32 s1, s1, 0
	scratch_store_b32 off, v56, s1
	s_cmp_eq_u32 s21, 39
	s_cbranch_scc1 .LBB0_82
.LBB0_126:                              ;   in Loop: Header=BB0_41 Depth=1
	s_lshl_b32 s1, s0, 2
	s_add_i32 s0, s0, 1
	s_add_i32 s1, s1, 0
	scratch_store_b32 off, v57, s1
	s_cmp_eq_u32 s21, 40
	s_cbranch_scc1 .LBB0_83
.LBB0_127:                              ;   in Loop: Header=BB0_41 Depth=1
	s_lshl_b32 s1, s0, 2
	s_add_i32 s0, s0, 1
	s_add_i32 s1, s1, 0
	scratch_store_b32 off, v58, s1
	s_cmp_eq_u32 s21, 41
	s_cbranch_scc1 .LBB0_84
.LBB0_128:                              ;   in Loop: Header=BB0_41 Depth=1
	s_lshl_b32 s1, s0, 2
	s_add_i32 s0, s0, 1
	s_add_i32 s1, s1, 0
	scratch_store_b32 off, v59, s1
	s_cmp_eq_u32 s21, 42
	s_cbranch_scc1 .LBB0_85
.LBB0_129:                              ;   in Loop: Header=BB0_41 Depth=1
	s_lshl_b32 s1, s0, 2
	s_add_i32 s0, s0, 1
	s_add_i32 s1, s1, 0
	scratch_store_b32 off, v60, s1
	s_cmp_eq_u32 s21, 43
	s_cbranch_scc1 .LBB0_86
.LBB0_130:                              ;   in Loop: Header=BB0_41 Depth=1
	s_lshl_b32 s1, s0, 2
	s_add_i32 s0, s0, 1
	s_add_i32 s1, s1, 0
	scratch_store_b32 off, v61, s1
	s_cmp_eq_u32 s21, 44
	s_cbranch_scc1 .LBB0_87
.LBB0_131:                              ;   in Loop: Header=BB0_41 Depth=1
	s_lshl_b32 s0, s0, 2
	s_delay_alu instid0(SALU_CYCLE_1)
	s_add_i32 s0, s0, 0
	scratch_store_b32 off, v62, s0
	s_and_saveexec_b32 s4, vcc_lo
	s_cbranch_execz .LBB0_135
.LBB0_132:                              ;   in Loop: Header=BB0_41 Depth=1
	s_mov_b64 s[6:7], 0
	s_mov_b32 s8, 0
	.p2align	6
.LBB0_133:                              ;   Parent Loop BB0_41 Depth=1
                                        ; =>  This Inner Loop Header: Depth=2
	s_cmp_lg_u32 s6, 4
	s_cselect_b32 s0, -1, 0
	s_cmp_lg_u32 s6, 3
	v_cndmask_b32_e64 v4, 0, v4, s0
	s_cselect_b32 s0, -1, 0
	s_cmp_lg_u32 s6, 2
	v_cndmask_b32_e64 v3, 0, v3, s0
	;; [unrolled: 3-line block ×4, first 2 shown]
	s_cselect_b32 s3, -1, 0
	s_add_u32 s6, s6, 1
	v_cndmask_b32_e64 v0, 0, v0, s3
	v_cmp_eq_u32_e64 s0, s6, v18
	s_addc_u32 s7, s7, 0
	s_delay_alu instid0(VALU_DEP_1) | instskip(NEXT) | instid1(SALU_CYCLE_1)
	s_or_b32 s8, s0, s8
	s_and_not1_b32 exec_lo, exec_lo, s8
	s_cbranch_execnz .LBB0_133
; %bb.134:                              ;   in Loop: Header=BB0_41 Depth=1
	s_or_b32 exec_lo, exec_lo, s8
.LBB0_135:                              ;   in Loop: Header=BB0_41 Depth=1
	s_delay_alu instid0(SALU_CYCLE_1) | instskip(SKIP_3) | instid1(VALU_DEP_1)
	s_or_b32 exec_lo, exec_lo, s4
	v_mad_u64_u32 v[6:7], null, s21, s16, v[5:6]
	s_mov_b32 s22, 0
	s_mov_b32 s23, 0
	v_ashrrev_i32_e32 v7, 31, v6
	s_delay_alu instid0(VALU_DEP_1) | instskip(NEXT) | instid1(VALU_DEP_1)
	v_lshlrev_b64 v[6:7], 2, v[6:7]
	v_add_co_u32 v6, s0, s12, v6
	s_delay_alu instid0(VALU_DEP_1)
	v_add_co_ci_u32_e64 v7, s0, s13, v7, s0
	s_branch .LBB0_138
.LBB0_136:                              ;   in Loop: Header=BB0_138 Depth=2
	v_ashrrev_i32_e32 v65, 31, v8
	v_mov_b32_e32 v64, v8
	v_ashrrev_i32_e32 v67, 31, v9
	v_mov_b32_e32 v66, v9
	s_add_i32 s23, s23, 1
	s_xor_b32 s1, exec_lo, -1
	v_lshlrev_b64 v[8:9], 2, v[64:65]
	s_delay_alu instid0(VALU_DEP_2) | instskip(NEXT) | instid1(VALU_DEP_2)
	v_lshlrev_b64 v[64:65], 2, v[66:67]
	v_add_co_u32 v66, s0, s10, v8
	s_delay_alu instid0(VALU_DEP_1) | instskip(NEXT) | instid1(VALU_DEP_3)
	v_add_co_ci_u32_e64 v67, s0, s11, v9, s0
	v_add_co_u32 v64, s0, s10, v64
	s_delay_alu instid0(VALU_DEP_1) | instskip(SKIP_2) | instid1(VALU_DEP_1)
	v_add_co_ci_u32_e64 v65, s0, s11, v65, s0
	global_load_b32 v66, v[66:67], off
	v_add_co_u32 v8, s0, v64, v8
	v_add_co_ci_u32_e64 v9, s0, v65, v9, s0
	s_clause 0x2
	global_load_b32 v64, v[64:65], off
	global_load_b32 v8, v[8:9], off offset:4
	global_load_b32 v9, v19, s[10:11] offset:4
	global_load_b32 v65, v[6:7], off
	s_waitcnt vmcnt(4)
	v_add_f32_e32 v66, 0, v66
	s_waitcnt vmcnt(3)
	s_delay_alu instid0(VALU_DEP_1) | instskip(SKIP_1) | instid1(VALU_DEP_1)
	v_add_f32_e32 v64, v66, v64
	s_waitcnt vmcnt(2)
	v_sub_f32_e32 v8, v64, v8
	s_waitcnt vmcnt(1)
	s_delay_alu instid0(VALU_DEP_1) | instskip(SKIP_1) | instid1(VALU_DEP_1)
	v_add_f32_e32 v8, v8, v9
	s_waitcnt vmcnt(0)
	v_add_f32_e32 v8, v65, v8
	global_store_b32 v[6:7], v8, off
.LBB0_137:                              ;   in Loop: Header=BB0_138 Depth=2
	s_or_b32 exec_lo, exec_lo, s24
	s_delay_alu instid0(SALU_CYCLE_1) | instskip(NEXT) | instid1(SALU_CYCLE_1)
	s_and_b32 s0, exec_lo, s1
	s_or_b32 s22, s0, s22
	s_delay_alu instid0(SALU_CYCLE_1)
	s_and_not1_b32 exec_lo, exec_lo, s22
	s_cbranch_execz .LBB0_40
.LBB0_138:                              ;   Parent Loop BB0_41 Depth=1
                                        ; =>  This Loop Header: Depth=2
                                        ;       Child Loop BB0_140 Depth 3
                                        ;       Child Loop BB0_154 Depth 3
	;; [unrolled: 1-line block ×3, first 2 shown]
                                        ;         Child Loop BB0_177 Depth 4
                                        ;         Child Loop BB0_183 Depth 4
	;; [unrolled: 1-line block ×3, first 2 shown]
	v_mov_b32_e32 v8, 1
	s_and_saveexec_b32 s1, vcc_lo
	s_cbranch_execz .LBB0_142
; %bb.139:                              ;   in Loop: Header=BB0_138 Depth=2
	v_mov_b32_e32 v9, v16
	s_mov_b32 s3, 1
	s_mov_b32 s2, 0
.LBB0_140:                              ;   Parent Loop BB0_41 Depth=1
                                        ;     Parent Loop BB0_138 Depth=2
                                        ; =>    This Inner Loop Header: Depth=3
	s_lshl_b32 s3, s3, 1
	s_delay_alu instid0(VALU_DEP_1) | instid1(SALU_CYCLE_1)
	v_dual_mov_b32 v8, s3 :: v_dual_add_nc_u32 v9, -1, v9
	s_delay_alu instid0(VALU_DEP_1) | instskip(NEXT) | instid1(VALU_DEP_1)
	v_cmp_eq_u32_e64 s0, 0, v9
	s_or_b32 s2, s0, s2
	s_delay_alu instid0(SALU_CYCLE_1)
	s_and_not1_b32 exec_lo, exec_lo, s2
	s_cbranch_execnz .LBB0_140
; %bb.141:                              ;   in Loop: Header=BB0_138 Depth=2
	s_or_b32 exec_lo, exec_lo, s2
.LBB0_142:                              ;   in Loop: Header=BB0_138 Depth=2
	s_delay_alu instid0(SALU_CYCLE_1) | instskip(NEXT) | instid1(VALU_DEP_1)
	s_or_b32 exec_lo, exec_lo, s1
	v_cmp_lt_u32_e64 s0, s23, v8
	s_cmp_lg_u32 s23, 0
	s_cselect_b32 s1, -1, 0
	s_delay_alu instid0(VALU_DEP_1) | instid1(SALU_CYCLE_1)
	s_and_b32 s1, s1, s0
	s_delay_alu instid0(SALU_CYCLE_1)
	s_and_saveexec_b32 s8, s1
	s_cbranch_execz .LBB0_166
; %bb.143:                              ;   in Loop: Header=BB0_138 Depth=2
	v_add_nc_u32_e32 v8, 1, v0
	v_cmp_lt_i32_e64 s1, 0, v0
	s_delay_alu instid0(VALU_DEP_2) | instskip(NEXT) | instid1(VALU_DEP_2)
	v_mov_b32_e32 v0, v8
	s_and_saveexec_b32 s9, s1
	s_cbranch_execz .LBB0_165
; %bb.144:                              ;   in Loop: Header=BB0_138 Depth=2
	s_mov_b32 s24, 0
	s_mov_b64 s[6:7], 9
	v_mov_b32_e32 v0, s24
                                        ; implicit-def: $sgpr25
	s_branch .LBB0_154
.LBB0_145:                              ;   in Loop: Header=BB0_154 Depth=3
	s_or_b32 exec_lo, exec_lo, s2
	s_delay_alu instid0(SALU_CYCLE_1)
	s_or_not1_b32 s2, s3, exec_lo
.LBB0_146:                              ;   in Loop: Header=BB0_154 Depth=3
	s_or_b32 exec_lo, exec_lo, s34
	s_delay_alu instid0(SALU_CYCLE_1)
	s_or_not1_b32 s2, s2, exec_lo
.LBB0_147:                              ;   in Loop: Header=BB0_154 Depth=3
	s_or_b32 exec_lo, exec_lo, s33
	s_delay_alu instid0(SALU_CYCLE_1)
	s_or_not1_b32 s2, s2, exec_lo
.LBB0_148:                              ;   in Loop: Header=BB0_154 Depth=3
	s_or_b32 exec_lo, exec_lo, s31
	s_delay_alu instid0(SALU_CYCLE_1)
	s_or_not1_b32 s2, s2, exec_lo
.LBB0_149:                              ;   in Loop: Header=BB0_154 Depth=3
	s_or_b32 exec_lo, exec_lo, s30
	s_delay_alu instid0(SALU_CYCLE_1)
	s_or_not1_b32 s2, s2, exec_lo
.LBB0_150:                              ;   in Loop: Header=BB0_154 Depth=3
	s_or_b32 exec_lo, exec_lo, s29
	s_delay_alu instid0(SALU_CYCLE_1)
	s_or_not1_b32 s2, s2, exec_lo
.LBB0_151:                              ;   in Loop: Header=BB0_154 Depth=3
	s_or_b32 exec_lo, exec_lo, s28
	s_delay_alu instid0(SALU_CYCLE_1)
	s_or_not1_b32 s2, s2, exec_lo
.LBB0_152:                              ;   in Loop: Header=BB0_154 Depth=3
	s_or_b32 exec_lo, exec_lo, s27
	s_delay_alu instid0(SALU_CYCLE_1) | instskip(SKIP_1) | instid1(SALU_CYCLE_1)
	s_and_not1_b32 s1, s25, exec_lo
	s_and_b32 s2, s2, exec_lo
	s_or_b32 s25, s1, s2
.LBB0_153:                              ;   in Loop: Header=BB0_154 Depth=3
	s_or_b32 exec_lo, exec_lo, s26
	s_delay_alu instid0(SALU_CYCLE_1) | instskip(NEXT) | instid1(SALU_CYCLE_1)
	s_and_b32 s1, exec_lo, s25
	s_or_b32 s24, s1, s24
	s_delay_alu instid0(SALU_CYCLE_1)
	s_and_not1_b32 exec_lo, exec_lo, s24
	s_cbranch_execz .LBB0_164
.LBB0_154:                              ;   Parent Loop BB0_41 Depth=1
                                        ;     Parent Loop BB0_138 Depth=2
                                        ; =>    This Inner Loop Header: Depth=3
	s_add_u32 s27, s6, -8
	s_mov_b32 s26, exec_lo
	s_cmp_eq_u32 s27, 1
	s_cselect_b32 s1, -1, 0
	s_cmp_eq_u32 s27, 2
	v_cndmask_b32_e64 v8, v0, v1, s1
	s_cselect_b32 s2, -1, 0
	s_cmp_eq_u32 s27, 3
	s_cselect_b32 s3, -1, 0
	s_delay_alu instid0(VALU_DEP_1) | instskip(SKIP_3) | instid1(VALU_DEP_1)
	v_cndmask_b32_e64 v8, v8, v2, s2
	s_cmp_eq_u32 s27, 4
	s_cselect_b32 s4, -1, 0
	s_cmp_eq_u32 s27, 0
	v_cndmask_b32_e64 v8, v8, v3, s3
	s_delay_alu instid0(VALU_DEP_1) | instskip(NEXT) | instid1(VALU_DEP_1)
	v_cndmask_b32_e64 v8, v8, v4, s4
	v_add_nc_u32_e32 v9, 1, v8
	s_delay_alu instid0(VALU_DEP_1)
	v_cndmask_b32_e64 v1, v1, v9, s1
	s_cselect_b32 s1, -1, 0
	v_cndmask_b32_e64 v4, v4, v9, s4
	v_cndmask_b32_e64 v3, v3, v9, s3
	;; [unrolled: 1-line block ×4, first 2 shown]
	s_or_b32 s25, s25, exec_lo
	v_cmpx_lt_i32_e32 0, v8
	s_cbranch_execz .LBB0_153
; %bb.155:                              ;   in Loop: Header=BB0_154 Depth=3
	s_cmp_lg_u32 s27, 4
	s_cselect_b32 s1, -1, 0
	s_cmp_lg_u32 s27, 3
	v_cndmask_b32_e64 v4, 0, v4, s1
	s_cselect_b32 s1, -1, 0
	s_cmp_lg_u32 s27, 2
	v_cndmask_b32_e64 v3, 0, v3, s1
	s_cselect_b32 s1, -1, 0
	s_cmp_lg_u32 s27, 1
	v_cndmask_b32_e64 v2, 0, v2, s1
	s_cselect_b32 s1, -1, 0
	s_cmp_lg_u32 s27, 0
	v_cndmask_b32_e64 v1, 0, v1, s1
	s_cselect_b32 s1, -1, 0
	s_add_u32 s28, s6, -7
	v_cndmask_b32_e64 v0, 0, v0, s1
	s_cmp_eq_u32 s28, 1
	s_mov_b32 s27, exec_lo
	s_cselect_b32 s1, -1, 0
	s_cmp_eq_u32 s28, 2
	v_cndmask_b32_e64 v8, v0, v1, s1
	s_cselect_b32 s2, -1, 0
	s_cmp_eq_u32 s28, 3
	s_cselect_b32 s3, -1, 0
	s_delay_alu instid0(VALU_DEP_1) | instskip(SKIP_3) | instid1(VALU_DEP_1)
	v_cndmask_b32_e64 v8, v8, v2, s2
	s_cmp_eq_u32 s28, 4
	s_cselect_b32 s4, -1, 0
	s_cmp_eq_u32 s28, 0
	v_cndmask_b32_e64 v8, v8, v3, s3
	s_delay_alu instid0(VALU_DEP_1) | instskip(NEXT) | instid1(VALU_DEP_1)
	v_cndmask_b32_e64 v8, v8, v4, s4
	v_add_nc_u32_e32 v9, 1, v8
	s_delay_alu instid0(VALU_DEP_1)
	v_cndmask_b32_e64 v1, v1, v9, s1
	s_cselect_b32 s1, -1, 0
	v_cndmask_b32_e64 v4, v4, v9, s4
	v_cndmask_b32_e64 v3, v3, v9, s3
	v_cndmask_b32_e64 v2, v2, v9, s2
	v_cndmask_b32_e64 v0, v0, v9, s1
	s_mov_b32 s2, -1
	v_cmpx_lt_i32_e32 0, v8
	s_cbranch_execz .LBB0_152
; %bb.156:                              ;   in Loop: Header=BB0_154 Depth=3
	s_cmp_lg_u32 s28, 4
	s_cselect_b32 s1, -1, 0
	s_cmp_lg_u32 s28, 3
	v_cndmask_b32_e64 v4, 0, v4, s1
	s_cselect_b32 s1, -1, 0
	s_cmp_lg_u32 s28, 2
	v_cndmask_b32_e64 v3, 0, v3, s1
	s_cselect_b32 s1, -1, 0
	s_cmp_lg_u32 s28, 1
	v_cndmask_b32_e64 v2, 0, v2, s1
	s_cselect_b32 s1, -1, 0
	s_cmp_lg_u32 s28, 0
	v_cndmask_b32_e64 v1, 0, v1, s1
	s_cselect_b32 s1, -1, 0
	s_add_u32 s29, s6, -6
	v_cndmask_b32_e64 v0, 0, v0, s1
	s_cmp_eq_u32 s29, 1
	s_mov_b32 s28, exec_lo
	s_cselect_b32 s1, -1, 0
	s_cmp_eq_u32 s29, 2
	v_cndmask_b32_e64 v8, v0, v1, s1
	s_cselect_b32 s2, -1, 0
	s_cmp_eq_u32 s29, 3
	s_cselect_b32 s3, -1, 0
	s_delay_alu instid0(VALU_DEP_1) | instskip(SKIP_3) | instid1(VALU_DEP_1)
	v_cndmask_b32_e64 v8, v8, v2, s2
	s_cmp_eq_u32 s29, 4
	s_cselect_b32 s4, -1, 0
	s_cmp_eq_u32 s29, 0
	v_cndmask_b32_e64 v8, v8, v3, s3
	s_delay_alu instid0(VALU_DEP_1) | instskip(NEXT) | instid1(VALU_DEP_1)
	v_cndmask_b32_e64 v8, v8, v4, s4
	v_add_nc_u32_e32 v9, 1, v8
	s_delay_alu instid0(VALU_DEP_1)
	v_cndmask_b32_e64 v1, v1, v9, s1
	s_cselect_b32 s1, -1, 0
	v_cndmask_b32_e64 v4, v4, v9, s4
	v_cndmask_b32_e64 v3, v3, v9, s3
	v_cndmask_b32_e64 v2, v2, v9, s2
	v_cndmask_b32_e64 v0, v0, v9, s1
	s_mov_b32 s2, -1
	;; [unrolled: 44-line block ×7, first 2 shown]
	v_cmpx_lt_i32_e32 0, v8
	s_cbranch_execz .LBB0_146
; %bb.162:                              ;   in Loop: Header=BB0_154 Depth=3
	s_cmp_lg_u32 s35, 4
	s_cselect_b32 s1, -1, 0
	s_cmp_lg_u32 s35, 3
	v_cndmask_b32_e64 v4, 0, v4, s1
	s_cselect_b32 s1, -1, 0
	s_cmp_lg_u32 s35, 2
	v_cndmask_b32_e64 v3, 0, v3, s1
	;; [unrolled: 3-line block ×4, first 2 shown]
	s_cselect_b32 s1, -1, 0
	s_cmp_eq_u32 s6, 1
	v_cndmask_b32_e64 v0, 0, v0, s1
	s_cselect_b32 s1, -1, 0
	s_cmp_eq_u32 s6, 2
	s_cselect_b32 s2, -1, 0
	s_delay_alu instid0(VALU_DEP_1) | instskip(SKIP_3) | instid1(VALU_DEP_1)
	v_cndmask_b32_e64 v8, v0, v1, s1
	s_cmp_eq_u32 s6, 3
	s_cselect_b32 s3, -1, 0
	s_cmp_eq_u32 s6, 4
	v_cndmask_b32_e64 v8, v8, v2, s2
	s_cselect_b32 s4, -1, 0
	s_cmp_eq_u32 s6, 0
	s_delay_alu instid0(VALU_DEP_1) | instskip(NEXT) | instid1(VALU_DEP_1)
	v_cndmask_b32_e64 v8, v8, v3, s3
	v_cndmask_b32_e64 v8, v8, v4, s4
	s_delay_alu instid0(VALU_DEP_1) | instskip(NEXT) | instid1(VALU_DEP_1)
	v_add_nc_u32_e32 v9, 1, v8
	v_cndmask_b32_e64 v1, v1, v9, s1
	s_cselect_b32 s1, -1, 0
	v_cndmask_b32_e64 v4, v4, v9, s4
	v_cndmask_b32_e64 v3, v3, v9, s3
	;; [unrolled: 1-line block ×4, first 2 shown]
	s_mov_b32 s3, -1
	s_mov_b32 s2, exec_lo
	v_cmpx_lt_i32_e32 0, v8
	s_cbranch_execz .LBB0_145
; %bb.163:                              ;   in Loop: Header=BB0_154 Depth=3
	s_cmp_lg_u32 s6, 4
	s_cselect_b32 s1, -1, 0
	s_cmp_lg_u32 s6, 3
	v_cndmask_b32_e64 v4, 0, v4, s1
	s_cselect_b32 s1, -1, 0
	s_cmp_lg_u32 s6, 2
	v_cndmask_b32_e64 v3, 0, v3, s1
	;; [unrolled: 3-line block ×4, first 2 shown]
	s_cselect_b32 s1, -1, 0
	s_add_u32 s6, s6, 9
	s_addc_u32 s7, s7, 0
	s_cmp_eq_u32 s6, 54
	v_cndmask_b32_e64 v0, 0, v0, s1
	s_cselect_b32 s1, -1, 0
	s_delay_alu instid0(SALU_CYCLE_1)
	s_or_not1_b32 s3, s1, exec_lo
	s_branch .LBB0_145
.LBB0_164:                              ;   in Loop: Header=BB0_138 Depth=2
	s_or_b32 exec_lo, exec_lo, s24
.LBB0_165:                              ;   in Loop: Header=BB0_138 Depth=2
	s_delay_alu instid0(SALU_CYCLE_1)
	s_or_b32 exec_lo, exec_lo, s9
.LBB0_166:                              ;   in Loop: Header=BB0_138 Depth=2
	s_delay_alu instid0(SALU_CYCLE_1)
	s_or_b32 exec_lo, exec_lo, s8
	s_mov_b32 s1, -1
	s_and_saveexec_b32 s24, s0
	s_cbranch_execz .LBB0_137
; %bb.167:                              ;   in Loop: Header=BB0_138 Depth=2
	s_mov_b32 s6, 0
	s_delay_alu instid0(SALU_CYCLE_1) | instskip(NEXT) | instid1(SALU_CYCLE_1)
	s_mov_b32 s7, s6
	v_dual_mov_b32 v9, s7 :: v_dual_mov_b32 v8, s6
	s_branch .LBB0_169
.LBB0_168:                              ;   in Loop: Header=BB0_169 Depth=3
	s_or_b32 exec_lo, exec_lo, s1
	s_add_i32 s6, s6, 3
	s_delay_alu instid0(SALU_CYCLE_1)
	s_cmpk_eq_i32 s6, 0x258
	s_cbranch_scc1 .LBB0_136
.LBB0_169:                              ;   Parent Loop BB0_41 Depth=1
                                        ;     Parent Loop BB0_138 Depth=2
                                        ; =>    This Loop Header: Depth=3
                                        ;         Child Loop BB0_177 Depth 4
                                        ;         Child Loop BB0_183 Depth 4
	;; [unrolled: 1-line block ×3, first 2 shown]
	s_mul_i32 s7, s6, 45
	s_mov_b32 s0, -1
	s_and_saveexec_b32 s25, vcc_lo
	s_cbranch_execnz .LBB0_175
; %bb.170:                              ;   in Loop: Header=BB0_169 Depth=3
	s_or_b32 exec_lo, exec_lo, s25
	s_and_saveexec_b32 s1, s0
	s_cbranch_execnz .LBB0_180
.LBB0_171:                              ;   in Loop: Header=BB0_169 Depth=3
	s_or_b32 exec_lo, exec_lo, s1
	s_mov_b32 s0, -1
	s_and_saveexec_b32 s25, vcc_lo
	s_cbranch_execnz .LBB0_181
.LBB0_172:                              ;   in Loop: Header=BB0_169 Depth=3
	s_or_b32 exec_lo, exec_lo, s25
	s_and_saveexec_b32 s1, s0
	s_cbranch_execnz .LBB0_186
.LBB0_173:                              ;   in Loop: Header=BB0_169 Depth=3
	s_or_b32 exec_lo, exec_lo, s1
	s_mov_b32 s0, -1
	s_and_saveexec_b32 s25, vcc_lo
	s_cbranch_execnz .LBB0_187
.LBB0_174:                              ;   in Loop: Header=BB0_169 Depth=3
	s_or_b32 exec_lo, exec_lo, s25
	s_and_saveexec_b32 s1, s0
	s_cbranch_execz .LBB0_168
	s_branch .LBB0_192
.LBB0_175:                              ;   in Loop: Header=BB0_169 Depth=3
	s_mov_b64 s[8:9], 0
	s_mov_b32 s26, 0
                                        ; implicit-def: $sgpr27
                                        ; implicit-def: $sgpr29
                                        ; implicit-def: $sgpr28
	s_branch .LBB0_177
.LBB0_176:                              ;   in Loop: Header=BB0_177 Depth=4
	s_or_b32 exec_lo, exec_lo, s1
	s_xor_b32 s0, s28, -1
	s_and_b32 s1, exec_lo, s29
	s_delay_alu instid0(SALU_CYCLE_1) | instskip(SKIP_2) | instid1(SALU_CYCLE_1)
	s_or_b32 s26, s1, s26
	s_and_not1_b32 s1, s27, exec_lo
	s_and_b32 s0, s0, exec_lo
	s_or_b32 s27, s1, s0
	s_and_not1_b32 exec_lo, exec_lo, s26
	s_cbranch_execz .LBB0_179
.LBB0_177:                              ;   Parent Loop BB0_41 Depth=1
                                        ;     Parent Loop BB0_138 Depth=2
                                        ;       Parent Loop BB0_169 Depth=3
                                        ; =>      This Inner Loop Header: Depth=4
	s_cmp_eq_u32 s8, 1
	s_cselect_b32 s0, -1, 0
	s_cmp_eq_u32 s8, 2
	v_cndmask_b32_e64 v64, v14, v13, s0
	s_cselect_b32 s1, -1, 0
	s_cmp_eq_u32 s8, 3
	s_cselect_b32 s2, -1, 0
	s_delay_alu instid0(VALU_DEP_1) | instskip(SKIP_3) | instid1(VALU_DEP_1)
	v_cndmask_b32_e64 v64, v64, v12, s1
	s_cmp_eq_u32 s8, 4
	s_cselect_b32 s3, -1, 0
	s_or_b32 s28, s28, exec_lo
	v_cndmask_b32_e64 v64, v64, v11, s2
	s_or_b32 s29, s29, exec_lo
	s_delay_alu instid0(VALU_DEP_1) | instskip(NEXT) | instid1(VALU_DEP_1)
	v_cndmask_b32_e64 v64, v64, v10, s3
	v_lshl_add_u32 v64, v64, 2, 0
	scratch_load_b32 v64, v64, off
	s_waitcnt vmcnt(0)
	v_add_nc_u32_e32 v64, s7, v64
	s_delay_alu instid0(VALU_DEP_1) | instskip(NEXT) | instid1(VALU_DEP_1)
	v_ashrrev_i32_e32 v65, 31, v64
	v_lshlrev_b64 v[64:65], 2, v[64:65]
	s_delay_alu instid0(VALU_DEP_1) | instskip(NEXT) | instid1(VALU_DEP_1)
	v_add_co_u32 v64, s4, s14, v64
	v_add_co_ci_u32_e64 v65, s4, s15, v65, s4
	global_load_b32 v64, v[64:65], off
	v_cndmask_b32_e64 v65, v0, v1, s0
	s_delay_alu instid0(VALU_DEP_1) | instskip(SKIP_1) | instid1(VALU_DEP_1)
	v_cndmask_b32_e64 v65, v65, v2, s1
	s_mov_b32 s1, exec_lo
	v_cndmask_b32_e64 v65, v65, v3, s2
	s_delay_alu instid0(VALU_DEP_1) | instskip(SKIP_1) | instid1(VALU_DEP_1)
	v_cndmask_b32_e64 v65, v65, v4, s3
	s_waitcnt vmcnt(0)
	v_cmpx_eq_u32_e64 v64, v65
	s_cbranch_execz .LBB0_176
; %bb.178:                              ;   in Loop: Header=BB0_177 Depth=4
	s_add_u32 s8, s8, 1
	s_addc_u32 s9, s9, 0
	v_cmp_eq_u32_e64 s0, s8, v18
	s_and_not1_b32 s2, s29, exec_lo
	s_and_not1_b32 s28, s28, exec_lo
	s_delay_alu instid0(VALU_DEP_1) | instskip(NEXT) | instid1(SALU_CYCLE_1)
	s_and_b32 s0, s0, exec_lo
	s_or_b32 s29, s2, s0
	s_branch .LBB0_176
.LBB0_179:                              ;   in Loop: Header=BB0_169 Depth=3
	s_or_b32 exec_lo, exec_lo, s26
	s_delay_alu instid0(SALU_CYCLE_1)
	s_or_not1_b32 s0, s27, exec_lo
	s_or_b32 exec_lo, exec_lo, s25
	s_and_saveexec_b32 s1, s0
	s_cbranch_execz .LBB0_171
.LBB0_180:                              ;   in Loop: Header=BB0_169 Depth=3
	s_add_i32 s4, s7, s21
	s_delay_alu instid0(SALU_CYCLE_1) | instskip(NEXT) | instid1(SALU_CYCLE_1)
	s_lshl_b64 s[2:3], s[4:5], 2
	s_add_u32 s2, s14, s2
	s_addc_u32 s3, s15, s3
	s_load_b32 s2, s[2:3], 0x0
	s_waitcnt lgkmcnt(0)
	s_cmp_eq_u32 s2, 1
	s_cselect_b32 s0, -1, 0
	s_cmp_eq_u32 s2, 0
	v_cndmask_b32_e64 v64, v8, v9, s0
	s_delay_alu instid0(VALU_DEP_1) | instskip(NEXT) | instid1(VALU_DEP_1)
	v_add_nc_u32_e32 v64, 1, v64
	v_cndmask_b32_e64 v9, v9, v64, s0
	s_cselect_b32 s0, -1, 0
	s_delay_alu instid0(SALU_CYCLE_1)
	v_cndmask_b32_e64 v8, v8, v64, s0
	s_or_b32 exec_lo, exec_lo, s1
	s_mov_b32 s0, -1
	s_and_saveexec_b32 s25, vcc_lo
	s_cbranch_execz .LBB0_172
.LBB0_181:                              ;   in Loop: Header=BB0_169 Depth=3
	s_add_i32 s26, s7, 45
	s_mov_b64 s[8:9], 0
	s_mov_b32 s27, 0
                                        ; implicit-def: $sgpr28
                                        ; implicit-def: $sgpr30
                                        ; implicit-def: $sgpr29
	s_branch .LBB0_183
.LBB0_182:                              ;   in Loop: Header=BB0_183 Depth=4
	s_or_b32 exec_lo, exec_lo, s1
	s_xor_b32 s0, s29, -1
	s_and_b32 s1, exec_lo, s30
	s_delay_alu instid0(SALU_CYCLE_1) | instskip(SKIP_2) | instid1(SALU_CYCLE_1)
	s_or_b32 s27, s1, s27
	s_and_not1_b32 s1, s28, exec_lo
	s_and_b32 s0, s0, exec_lo
	s_or_b32 s28, s1, s0
	s_and_not1_b32 exec_lo, exec_lo, s27
	s_cbranch_execz .LBB0_185
.LBB0_183:                              ;   Parent Loop BB0_41 Depth=1
                                        ;     Parent Loop BB0_138 Depth=2
                                        ;       Parent Loop BB0_169 Depth=3
                                        ; =>      This Inner Loop Header: Depth=4
	s_cmp_eq_u32 s8, 1
	s_cselect_b32 s0, -1, 0
	s_cmp_eq_u32 s8, 2
	v_cndmask_b32_e64 v64, v14, v13, s0
	s_cselect_b32 s1, -1, 0
	s_cmp_eq_u32 s8, 3
	s_cselect_b32 s2, -1, 0
	s_delay_alu instid0(VALU_DEP_1) | instskip(SKIP_3) | instid1(VALU_DEP_1)
	v_cndmask_b32_e64 v64, v64, v12, s1
	s_cmp_eq_u32 s8, 4
	s_cselect_b32 s3, -1, 0
	s_or_b32 s29, s29, exec_lo
	v_cndmask_b32_e64 v64, v64, v11, s2
	s_or_b32 s30, s30, exec_lo
	s_delay_alu instid0(VALU_DEP_1) | instskip(NEXT) | instid1(VALU_DEP_1)
	v_cndmask_b32_e64 v64, v64, v10, s3
	v_lshl_add_u32 v64, v64, 2, 0
	scratch_load_b32 v64, v64, off
	s_waitcnt vmcnt(0)
	v_add_nc_u32_e32 v64, s26, v64
	s_delay_alu instid0(VALU_DEP_1) | instskip(NEXT) | instid1(VALU_DEP_1)
	v_ashrrev_i32_e32 v65, 31, v64
	v_lshlrev_b64 v[64:65], 2, v[64:65]
	s_delay_alu instid0(VALU_DEP_1) | instskip(NEXT) | instid1(VALU_DEP_1)
	v_add_co_u32 v64, s4, s14, v64
	v_add_co_ci_u32_e64 v65, s4, s15, v65, s4
	global_load_b32 v64, v[64:65], off
	v_cndmask_b32_e64 v65, v0, v1, s0
	s_delay_alu instid0(VALU_DEP_1) | instskip(SKIP_1) | instid1(VALU_DEP_1)
	v_cndmask_b32_e64 v65, v65, v2, s1
	s_mov_b32 s1, exec_lo
	v_cndmask_b32_e64 v65, v65, v3, s2
	s_delay_alu instid0(VALU_DEP_1) | instskip(SKIP_1) | instid1(VALU_DEP_1)
	v_cndmask_b32_e64 v65, v65, v4, s3
	s_waitcnt vmcnt(0)
	v_cmpx_eq_u32_e64 v64, v65
	s_cbranch_execz .LBB0_182
; %bb.184:                              ;   in Loop: Header=BB0_183 Depth=4
	s_add_u32 s8, s8, 1
	s_addc_u32 s9, s9, 0
	v_cmp_eq_u32_e64 s0, s8, v18
	s_and_not1_b32 s2, s30, exec_lo
	s_and_not1_b32 s29, s29, exec_lo
	s_delay_alu instid0(VALU_DEP_1) | instskip(NEXT) | instid1(SALU_CYCLE_1)
	s_and_b32 s0, s0, exec_lo
	s_or_b32 s30, s2, s0
	s_branch .LBB0_182
.LBB0_185:                              ;   in Loop: Header=BB0_169 Depth=3
	s_or_b32 exec_lo, exec_lo, s27
	s_delay_alu instid0(SALU_CYCLE_1)
	s_or_not1_b32 s0, s28, exec_lo
	s_or_b32 exec_lo, exec_lo, s25
	s_and_saveexec_b32 s1, s0
	s_cbranch_execz .LBB0_173
.LBB0_186:                              ;   in Loop: Header=BB0_169 Depth=3
	s_add_u32 s2, s7, s21
	s_addc_u32 s3, 0, 0
	s_delay_alu instid0(SALU_CYCLE_1) | instskip(NEXT) | instid1(SALU_CYCLE_1)
	s_lshl_b64 s[2:3], s[2:3], 2
	s_add_u32 s2, s17, s2
	s_addc_u32 s3, s18, s3
	s_load_b32 s2, s[2:3], 0x0
	s_waitcnt lgkmcnt(0)
	s_cmp_eq_u32 s2, 1
	s_cselect_b32 s0, -1, 0
	s_cmp_eq_u32 s2, 0
	v_cndmask_b32_e64 v64, v8, v9, s0
	s_delay_alu instid0(VALU_DEP_1) | instskip(NEXT) | instid1(VALU_DEP_1)
	v_add_nc_u32_e32 v64, 1, v64
	v_cndmask_b32_e64 v9, v9, v64, s0
	s_cselect_b32 s0, -1, 0
	s_delay_alu instid0(SALU_CYCLE_1)
	v_cndmask_b32_e64 v8, v8, v64, s0
	s_or_b32 exec_lo, exec_lo, s1
	s_mov_b32 s0, -1
	s_and_saveexec_b32 s25, vcc_lo
	s_cbranch_execz .LBB0_174
.LBB0_187:                              ;   in Loop: Header=BB0_169 Depth=3
	s_add_i32 s26, s7, 0x5a
	s_mov_b64 s[8:9], 0
	s_mov_b32 s27, 0
                                        ; implicit-def: $sgpr28
                                        ; implicit-def: $sgpr30
                                        ; implicit-def: $sgpr29
	s_branch .LBB0_189
.LBB0_188:                              ;   in Loop: Header=BB0_189 Depth=4
	s_or_b32 exec_lo, exec_lo, s1
	s_xor_b32 s0, s29, -1
	s_and_b32 s1, exec_lo, s30
	s_delay_alu instid0(SALU_CYCLE_1) | instskip(SKIP_2) | instid1(SALU_CYCLE_1)
	s_or_b32 s27, s1, s27
	s_and_not1_b32 s1, s28, exec_lo
	s_and_b32 s0, s0, exec_lo
	s_or_b32 s28, s1, s0
	s_and_not1_b32 exec_lo, exec_lo, s27
	s_cbranch_execz .LBB0_191
.LBB0_189:                              ;   Parent Loop BB0_41 Depth=1
                                        ;     Parent Loop BB0_138 Depth=2
                                        ;       Parent Loop BB0_169 Depth=3
                                        ; =>      This Inner Loop Header: Depth=4
	s_cmp_eq_u32 s8, 1
	s_cselect_b32 s0, -1, 0
	s_cmp_eq_u32 s8, 2
	v_cndmask_b32_e64 v64, v14, v13, s0
	s_cselect_b32 s1, -1, 0
	s_cmp_eq_u32 s8, 3
	s_cselect_b32 s2, -1, 0
	s_delay_alu instid0(VALU_DEP_1) | instskip(SKIP_3) | instid1(VALU_DEP_1)
	v_cndmask_b32_e64 v64, v64, v12, s1
	s_cmp_eq_u32 s8, 4
	s_cselect_b32 s3, -1, 0
	s_or_b32 s29, s29, exec_lo
	v_cndmask_b32_e64 v64, v64, v11, s2
	s_or_b32 s30, s30, exec_lo
	s_delay_alu instid0(VALU_DEP_1) | instskip(NEXT) | instid1(VALU_DEP_1)
	v_cndmask_b32_e64 v64, v64, v10, s3
	v_lshl_add_u32 v64, v64, 2, 0
	scratch_load_b32 v64, v64, off
	s_waitcnt vmcnt(0)
	v_add_nc_u32_e32 v64, s26, v64
	s_delay_alu instid0(VALU_DEP_1) | instskip(NEXT) | instid1(VALU_DEP_1)
	v_ashrrev_i32_e32 v65, 31, v64
	v_lshlrev_b64 v[64:65], 2, v[64:65]
	s_delay_alu instid0(VALU_DEP_1) | instskip(NEXT) | instid1(VALU_DEP_1)
	v_add_co_u32 v64, s4, s14, v64
	v_add_co_ci_u32_e64 v65, s4, s15, v65, s4
	global_load_b32 v64, v[64:65], off
	v_cndmask_b32_e64 v65, v0, v1, s0
	s_delay_alu instid0(VALU_DEP_1) | instskip(SKIP_1) | instid1(VALU_DEP_1)
	v_cndmask_b32_e64 v65, v65, v2, s1
	s_mov_b32 s1, exec_lo
	v_cndmask_b32_e64 v65, v65, v3, s2
	s_delay_alu instid0(VALU_DEP_1) | instskip(SKIP_1) | instid1(VALU_DEP_1)
	v_cndmask_b32_e64 v65, v65, v4, s3
	s_waitcnt vmcnt(0)
	v_cmpx_eq_u32_e64 v64, v65
	s_cbranch_execz .LBB0_188
; %bb.190:                              ;   in Loop: Header=BB0_189 Depth=4
	s_add_u32 s8, s8, 1
	s_addc_u32 s9, s9, 0
	v_cmp_eq_u32_e64 s0, s8, v18
	s_and_not1_b32 s2, s30, exec_lo
	s_and_not1_b32 s29, s29, exec_lo
	s_delay_alu instid0(VALU_DEP_1) | instskip(NEXT) | instid1(SALU_CYCLE_1)
	s_and_b32 s0, s0, exec_lo
	s_or_b32 s30, s2, s0
	s_branch .LBB0_188
.LBB0_191:                              ;   in Loop: Header=BB0_169 Depth=3
	s_or_b32 exec_lo, exec_lo, s27
	s_delay_alu instid0(SALU_CYCLE_1)
	s_or_not1_b32 s0, s28, exec_lo
	s_or_b32 exec_lo, exec_lo, s25
	s_and_saveexec_b32 s1, s0
	s_cbranch_execz .LBB0_168
.LBB0_192:                              ;   in Loop: Header=BB0_169 Depth=3
	s_add_u32 s2, s7, s21
	s_addc_u32 s3, 0, 0
	s_delay_alu instid0(SALU_CYCLE_1) | instskip(NEXT) | instid1(SALU_CYCLE_1)
	s_lshl_b64 s[2:3], s[2:3], 2
	s_add_u32 s2, s19, s2
	s_addc_u32 s3, s20, s3
	s_load_b32 s2, s[2:3], 0x0
	s_waitcnt lgkmcnt(0)
	s_cmp_eq_u32 s2, 1
	s_cselect_b32 s0, -1, 0
	s_cmp_eq_u32 s2, 0
	v_cndmask_b32_e64 v64, v8, v9, s0
	s_delay_alu instid0(VALU_DEP_1) | instskip(NEXT) | instid1(VALU_DEP_1)
	v_add_nc_u32_e32 v64, 1, v64
	v_cndmask_b32_e64 v9, v9, v64, s0
	s_cselect_b32 s0, -1, 0
	s_delay_alu instid0(SALU_CYCLE_1)
	v_cndmask_b32_e64 v8, v8, v64, s0
	s_branch .LBB0_168
.LBB0_193:
	s_endpgm
	.section	.rodata,"a",@progbits
	.p2align	6, 0x0
	.amdhsa_kernel _Z14genScoreKerneliPfPKiPKf
		.amdhsa_group_segment_fixed_size 0
		.amdhsa_private_segment_fixed_size 192
		.amdhsa_kernarg_size 32
		.amdhsa_user_sgpr_count 15
		.amdhsa_user_sgpr_dispatch_ptr 0
		.amdhsa_user_sgpr_queue_ptr 0
		.amdhsa_user_sgpr_kernarg_segment_ptr 1
		.amdhsa_user_sgpr_dispatch_id 0
		.amdhsa_user_sgpr_private_segment_size 0
		.amdhsa_wavefront_size32 1
		.amdhsa_uses_dynamic_stack 0
		.amdhsa_enable_private_segment 1
		.amdhsa_system_sgpr_workgroup_id_x 1
		.amdhsa_system_sgpr_workgroup_id_y 0
		.amdhsa_system_sgpr_workgroup_id_z 0
		.amdhsa_system_sgpr_workgroup_info 0
		.amdhsa_system_vgpr_workitem_id 0
		.amdhsa_next_free_vgpr 68
		.amdhsa_next_free_sgpr 36
		.amdhsa_reserve_vcc 1
		.amdhsa_float_round_mode_32 0
		.amdhsa_float_round_mode_16_64 0
		.amdhsa_float_denorm_mode_32 3
		.amdhsa_float_denorm_mode_16_64 3
		.amdhsa_dx10_clamp 1
		.amdhsa_ieee_mode 1
		.amdhsa_fp16_overflow 0
		.amdhsa_workgroup_processor_mode 1
		.amdhsa_memory_ordered 1
		.amdhsa_forward_progress 0
		.amdhsa_shared_vgpr_count 0
		.amdhsa_exception_fp_ieee_invalid_op 0
		.amdhsa_exception_fp_denorm_src 0
		.amdhsa_exception_fp_ieee_div_zero 0
		.amdhsa_exception_fp_ieee_overflow 0
		.amdhsa_exception_fp_ieee_underflow 0
		.amdhsa_exception_fp_ieee_inexact 0
		.amdhsa_exception_int_div_zero 0
	.end_amdhsa_kernel
	.text
.Lfunc_end0:
	.size	_Z14genScoreKerneliPfPKiPKf, .Lfunc_end0-_Z14genScoreKerneliPfPKiPKf
                                        ; -- End function
	.section	.AMDGPU.csdata,"",@progbits
; Kernel info:
; codeLenInByte = 8080
; NumSgprs: 38
; NumVgprs: 68
; ScratchSize: 192
; MemoryBound: 0
; FloatMode: 240
; IeeeMode: 1
; LDSByteSize: 0 bytes/workgroup (compile time only)
; SGPRBlocks: 4
; VGPRBlocks: 8
; NumSGPRsForWavesPerEU: 38
; NumVGPRsForWavesPerEU: 68
; Occupancy: 16
; WaveLimiterHint : 0
; COMPUTE_PGM_RSRC2:SCRATCH_EN: 1
; COMPUTE_PGM_RSRC2:USER_SGPR: 15
; COMPUTE_PGM_RSRC2:TRAP_HANDLER: 0
; COMPUTE_PGM_RSRC2:TGID_X_EN: 1
; COMPUTE_PGM_RSRC2:TGID_Y_EN: 0
; COMPUTE_PGM_RSRC2:TGID_Z_EN: 0
; COMPUTE_PGM_RSRC2:TIDIG_COMP_CNT: 0
	.text
	.protected	_Z13computeKerneliiPKfPKbiiPfPi ; -- Begin function _Z13computeKerneliiPKfPKbiiPfPi
	.globl	_Z13computeKerneliiPKfPKbiiPfPi
	.p2align	8
	.type	_Z13computeKerneliiPKfPKbiiPfPi,@function
_Z13computeKerneliiPKfPKbiiPfPi:        ; @_Z13computeKerneliiPKfPKbiiPfPi
; %bb.0:
	s_load_b128 s[4:7], s[0:1], 0x8
	s_mov_b32 s16, 0
	s_getpc_b64 s[2:3]
	s_add_u32 s2, s2, __const._Z13computeKerneliiPKfPKbiiPfPi.parent@rel32@lo+4
	s_addc_u32 s3, s3, __const._Z13computeKerneliiPKfPKbiiPfPi.parent@rel32@hi+12
	s_mov_b32 s17, s16
	s_mov_b32 s18, s16
	;; [unrolled: 1-line block ×3, first 2 shown]
	v_dual_mov_b32 v1, 0 :: v_dual_mov_b32 v2, s16
	s_mov_b32 s8, s15
	s_load_b128 s[12:15], s[2:3], 0x0
	v_dual_mov_b32 v3, s17 :: v_dual_mov_b32 v4, s18
	s_waitcnt lgkmcnt(0)
	global_load_u8 v6, v1, s[6:7]
	s_waitcnt vmcnt(0)
	v_dual_mov_b32 v5, s19 :: v_dual_and_b32 v10, 1, v6
	v_dual_mov_b32 v6, s12 :: v_dual_mov_b32 v7, s13
	v_dual_mov_b32 v8, s14 :: v_dual_mov_b32 v9, s15
	s_delay_alu instid0(VALU_DEP_3)
	v_cmp_eq_u32_e32 vcc_lo, 1, v10
	s_clause 0xd
	scratch_store_b32 off, v1, off offset:176
	scratch_store_b128 off, v[2:5], off offset:160
	scratch_store_b128 off, v[2:5], off offset:144
	;; [unrolled: 1-line block ×10, first 2 shown]
	scratch_store_b128 off, v[2:5], off
	scratch_store_b128 off, v[6:9], off offset:192
	scratch_store_b32 off, v1, off offset:208
	s_cbranch_vccz .LBB1_2
; %bb.1:
	v_or_b32_e64 v2, 0, 8
	s_mov_b32 s9, 2
	scratch_store_b32 off, v1, off offset:4
	global_load_u8 v1, v1, s[6:7] offset:1
	s_waitcnt vmcnt(0)
	v_cmp_eq_u32_e32 vcc_lo, 0, v1
	s_cbranch_vccz .LBB1_3
	s_branch .LBB1_4
.LBB1_2:
	v_or_b32_e64 v2, 0, 4
	s_mov_b32 s9, 1
	global_load_u8 v1, v1, s[6:7] offset:1
	s_waitcnt vmcnt(0)
	v_cmp_eq_u32_e32 vcc_lo, 0, v1
	s_cbranch_vccnz .LBB1_4
.LBB1_3:
	v_mov_b32_e32 v1, 1
	s_add_i32 s9, s9, 1
	scratch_store_b32 v2, v1, off
.LBB1_4:
	v_mov_b32_e32 v1, 0
	global_load_u8 v2, v1, s[6:7] offset:2
	s_waitcnt vmcnt(0)
	v_cmp_eq_u32_e32 vcc_lo, 0, v2
	s_cbranch_vccnz .LBB1_6
; %bb.5:
	v_mov_b32_e32 v2, 2
	s_lshl_b32 s2, s9, 2
	s_add_i32 s9, s9, 1
	s_add_i32 s2, s2, 0
	scratch_store_b32 off, v2, s2
.LBB1_6:
	global_load_u8 v1, v1, s[6:7] offset:3
	s_waitcnt vmcnt(0)
	v_cmp_eq_u32_e32 vcc_lo, 0, v1
	s_cbranch_vccnz .LBB1_8
; %bb.7:
	v_mov_b32_e32 v1, 3
	s_lshl_b32 s2, s9, 2
	s_add_i32 s9, s9, 1
	s_add_i32 s2, s2, 0
	scratch_store_b32 off, v1, s2
.LBB1_8:
	v_mov_b32_e32 v1, 0
	global_load_u8 v2, v1, s[6:7] offset:4
	s_waitcnt vmcnt(0)
	v_cmp_eq_u32_e32 vcc_lo, 0, v2
	s_cbranch_vccnz .LBB1_10
; %bb.9:
	v_mov_b32_e32 v2, 4
	s_lshl_b32 s2, s9, 2
	s_add_i32 s9, s9, 1
	s_add_i32 s2, s2, 0
	scratch_store_b32 off, v2, s2
.LBB1_10:
	global_load_u8 v1, v1, s[6:7] offset:5
	s_waitcnt vmcnt(0)
	v_cmp_eq_u32_e32 vcc_lo, 0, v1
	s_cbranch_vccnz .LBB1_12
; %bb.11:
	v_mov_b32_e32 v1, 5
	s_lshl_b32 s2, s9, 2
	s_add_i32 s9, s9, 1
	s_add_i32 s2, s2, 0
	scratch_store_b32 off, v1, s2
.LBB1_12:
	;; [unrolled: 23-line block ×21, first 2 shown]
	v_mov_b32_e32 v4, 0
	global_load_u8 v1, v4, s[6:7] offset:44
	s_waitcnt vmcnt(0)
	v_cmp_eq_u32_e32 vcc_lo, 0, v1
	s_cbranch_vccnz .LBB1_90
; %bb.89:
	v_mov_b32_e32 v1, 44
	s_lshl_b32 s2, s9, 2
	s_add_i32 s9, s9, 1
	s_add_i32 s2, s2, 0
	scratch_store_b32 off, v1, s2
.LBB1_90:
	s_load_b64 s[6:7], s[0:1], 0x0
	s_waitcnt lgkmcnt(0)
	s_cmp_gt_i32 s6, 0
	s_cbranch_scc0 .LBB1_173
; %bb.91:
	s_load_b64 s[10:11], s[0:1], 0x18
	v_lshl_add_u32 v2, s8, 8, v0
	v_or_b32_e64 v10, 0xc0, 4
	v_or_b32_e64 v11, 0xc0, 8
	;; [unrolled: 1-line block ×3, first 2 shown]
	v_add_nc_u32_e64 v13, 0xc0, 16
	v_mul_lo_u32 v16, v2, s6
	v_add_nc_u32_e64 v14, 0xc0, -4
	v_dual_mov_b32 v9, 0xd8635fa9 :: v_dual_mov_b32 v2, 0
	v_dual_mov_b32 v1, 0 :: v_dual_mov_b32 v4, 0
	v_mov_b32_e32 v5, -1
	v_mov_b32_e32 v15, 0
	v_mov_b32_e32 v3, 0
	s_mov_b32 s12, 0
	s_mov_b32 s13, 0
                                        ; implicit-def: $sgpr14
	s_waitcnt lgkmcnt(0)
	s_mul_i32 s7, s10, s7
	s_branch .LBB1_94
.LBB1_92:                               ;   in Loop: Header=BB1_94 Depth=1
	s_or_b32 exec_lo, exec_lo, s2
	s_delay_alu instid0(VALU_DEP_1) | instskip(SKIP_1) | instid1(SALU_CYCLE_1)
	v_add_nc_u32_e32 v6, s7, v6
	s_add_i32 s13, s13, 1
	s_cmp_eq_u32 s13, s6
	s_cselect_b32 s2, -1, 0
	s_delay_alu instid0(VALU_DEP_1) | instskip(SKIP_2) | instid1(SALU_CYCLE_1)
	v_ashrrev_i32_e32 v7, 31, v6
	s_and_not1_b32 s3, s14, exec_lo
	s_and_b32 s2, s2, exec_lo
	s_or_b32 s14, s3, s2
	s_delay_alu instid0(VALU_DEP_1) | instskip(NEXT) | instid1(VALU_DEP_1)
	v_lshlrev_b64 v[6:7], 2, v[6:7]
	v_add_co_u32 v6, vcc_lo, s4, v6
	s_delay_alu instid0(VALU_DEP_2)
	v_add_co_ci_u32_e32 v7, vcc_lo, s5, v7, vcc_lo
	global_load_b32 v6, v[6:7], off
	scratch_load_b128 v[17:20], off, off offset:196
	s_waitcnt vmcnt(1)
	v_cmp_gt_f32_e32 vcc_lo, v6, v9
	s_waitcnt vmcnt(0)
	v_dual_cndmask_b32 v1, v1, v17 :: v_dual_cndmask_b32 v2, v2, v18
	v_dual_cndmask_b32 v3, v3, v19 :: v_dual_cndmask_b32 v4, v4, v20
	v_cndmask_b32_e32 v9, v9, v6, vcc_lo
.LBB1_93:                               ;   in Loop: Header=BB1_94 Depth=1
	s_or_b32 exec_lo, exec_lo, s15
	s_delay_alu instid0(SALU_CYCLE_1) | instskip(NEXT) | instid1(SALU_CYCLE_1)
	s_and_b32 s2, exec_lo, s14
	s_or_b32 s12, s2, s12
	s_delay_alu instid0(SALU_CYCLE_1)
	s_and_not1_b32 exec_lo, exec_lo, s12
	s_cbranch_execz .LBB1_172
.LBB1_94:                               ; =>This Loop Header: Depth=1
                                        ;     Child Loop BB1_98 Depth 2
                                        ;       Child Loop BB1_99 Depth 3
                                        ;       Child Loop BB1_101 Depth 3
                                        ;     Child Loop BB1_106 Depth 2
                                        ;     Child Loop BB1_110 Depth 2
	;; [unrolled: 1-line block ×3, first 2 shown]
                                        ;       Child Loop BB1_116 Depth 3
                                        ;         Child Loop BB1_117 Depth 4
                                        ;         Child Loop BB1_119 Depth 4
                                        ;       Child Loop BB1_123 Depth 3
                                        ;       Child Loop BB1_125 Depth 3
                                        ;     Child Loop BB1_130 Depth 2
                                        ;     Child Loop BB1_144 Depth 2
	;; [unrolled: 1-line block ×3, first 2 shown]
                                        ;       Child Loop BB1_148 Depth 3
                                        ;       Child Loop BB1_150 Depth 3
                                        ;     Child Loop BB1_157 Depth 2
                                        ;       Child Loop BB1_160 Depth 3
                                        ;         Child Loop BB1_162 Depth 4
                                        ;         Child Loop BB1_166 Depth 4
	v_add_nc_u32_e32 v8, s13, v16
	s_or_b32 s14, s14, exec_lo
	s_mov_b32 s15, exec_lo
	s_delay_alu instid0(VALU_DEP_1)
	v_cmpx_gt_u32_e64 s11, v8
	s_cbranch_execz .LBB1_93
; %bb.95:                               ;   in Loop: Header=BB1_94 Depth=1
	s_mov_b32 s2, exec_lo
	v_cmpx_ne_u32_e32 0, v8
	s_xor_b32 s3, exec_lo, s2
	s_cbranch_execz .LBB1_132
; %bb.96:                               ;   in Loop: Header=BB1_94 Depth=1
	v_dual_mov_b32 v6, 1 :: v_dual_mov_b32 v17, 0
	s_mov_b32 s16, 0
	s_mov_b32 s2, exec_lo
	v_cmpx_lt_i32_e32 0, v8
	s_cbranch_execz .LBB1_104
; %bb.97:                               ;   in Loop: Header=BB1_94 Depth=1
	s_mov_b32 s17, 1
	s_mov_b32 s18, 0
	s_set_inst_prefetch_distance 0x1
	.p2align	6
.LBB1_98:                               ;   Parent Loop BB1_94 Depth=1
                                        ; =>  This Loop Header: Depth=2
                                        ;       Child Loop BB1_99 Depth 3
                                        ;       Child Loop BB1_101 Depth 3
	s_mov_b32 s20, 0
	s_mov_b32 s19, 1
.LBB1_99:                               ;   Parent Loop BB1_94 Depth=1
                                        ;     Parent Loop BB1_98 Depth=2
                                        ; =>    This Inner Loop Header: Depth=3
	s_add_i32 s21, s9, s20
	s_add_i32 s20, s20, -1
	s_mul_i32 s19, s19, s21
	s_add_i32 s22, s17, s20
	s_delay_alu instid0(SALU_CYCLE_1)
	s_cmp_lg_u32 s22, 0
	s_cbranch_scc1 .LBB1_99
; %bb.100:                              ;   in Loop: Header=BB1_98 Depth=2
	s_mov_b32 s20, s17
	.p2align	6
.LBB1_101:                              ;   Parent Loop BB1_94 Depth=1
                                        ;     Parent Loop BB1_98 Depth=2
                                        ; =>    This Inner Loop Header: Depth=3
	s_delay_alu instid0(SALU_CYCLE_1) | instskip(SKIP_4) | instid1(SALU_CYCLE_1)
	s_abs_i32 s21, s20
	s_abs_i32 s24, s19
	v_cvt_f32_u32_e32 v6, s21
	s_sub_i32 s23, 0, s21
	s_xor_b32 s19, s19, s20
	s_ashr_i32 s19, s19, 31
	s_delay_alu instid0(VALU_DEP_1) | instskip(SKIP_2) | instid1(VALU_DEP_1)
	v_rcp_iflag_f32_e32 v6, v6
	s_waitcnt_depctr 0xfff
	v_mul_f32_e32 v6, 0x4f7ffffe, v6
	v_cvt_u32_f32_e32 v6, v6
	s_delay_alu instid0(VALU_DEP_1) | instskip(NEXT) | instid1(VALU_DEP_1)
	v_readfirstlane_b32 s22, v6
	s_mul_i32 s23, s23, s22
	s_delay_alu instid0(SALU_CYCLE_1) | instskip(NEXT) | instid1(SALU_CYCLE_1)
	s_mul_hi_u32 s23, s22, s23
	s_add_i32 s22, s22, s23
	s_delay_alu instid0(SALU_CYCLE_1) | instskip(NEXT) | instid1(SALU_CYCLE_1)
	s_mul_hi_u32 s22, s24, s22
	s_mul_i32 s23, s22, s21
	s_delay_alu instid0(SALU_CYCLE_1)
	s_sub_i32 s23, s24, s23
	s_add_i32 s24, s22, 1
	s_sub_i32 s25, s23, s21
	s_cmp_ge_u32 s23, s21
	s_cselect_b32 s22, s24, s22
	s_cselect_b32 s23, s25, s23
	s_add_i32 s24, s22, 1
	s_cmp_ge_u32 s23, s21
	s_cselect_b32 s21, s24, s22
	s_add_i32 s20, s20, -1
	s_xor_b32 s21, s21, s19
	s_delay_alu instid0(SALU_CYCLE_1)
	s_sub_i32 s19, s21, s19
	s_cmp_lg_u32 s20, 0
	s_cbranch_scc1 .LBB1_101
; %bb.102:                              ;   in Loop: Header=BB1_98 Depth=2
	s_add_i32 s18, s19, s18
	s_add_i32 s17, s17, 1
	v_cmp_ge_i32_e32 vcc_lo, s18, v8
	v_dual_mov_b32 v6, s17 :: v_dual_mov_b32 v17, s18
	s_or_b32 s16, vcc_lo, s16
	s_delay_alu instid0(SALU_CYCLE_1)
	s_and_not1_b32 exec_lo, exec_lo, s16
	s_cbranch_execnz .LBB1_98
; %bb.103:                              ;   in Loop: Header=BB1_94 Depth=1
	s_set_inst_prefetch_distance 0x2
	s_or_b32 exec_lo, exec_lo, s16
.LBB1_104:                              ;   in Loop: Header=BB1_94 Depth=1
	s_delay_alu instid0(SALU_CYCLE_1)
	s_or_b32 exec_lo, exec_lo, s2
	v_dual_mov_b32 v18, 1 :: v_dual_add_nc_u32 v7, -1, v6
	v_cmp_lt_u32_e32 vcc_lo, 1, v6
	s_mov_b32 s17, 1
	s_and_saveexec_b32 s16, vcc_lo
	s_cbranch_execz .LBB1_108
; %bb.105:                              ;   in Loop: Header=BB1_94 Depth=1
	v_mov_b32_e32 v19, v7
	s_mov_b32 s18, 0
	s_mov_b32 s19, s9
.LBB1_106:                              ;   Parent Loop BB1_94 Depth=1
                                        ; =>  This Inner Loop Header: Depth=2
	s_delay_alu instid0(SALU_CYCLE_1)
	s_mul_i32 s17, s17, s19
	s_delay_alu instid0(VALU_DEP_1) | instid1(SALU_CYCLE_1)
	v_dual_mov_b32 v18, s17 :: v_dual_add_nc_u32 v19, -1, v19
	s_add_i32 s19, s19, -1
	s_delay_alu instid0(VALU_DEP_1) | instskip(NEXT) | instid1(VALU_DEP_1)
	v_cmp_eq_u32_e64 s2, 0, v19
	s_or_b32 s18, s2, s18
	s_delay_alu instid0(SALU_CYCLE_1)
	s_and_not1_b32 exec_lo, exec_lo, s18
	s_cbranch_execnz .LBB1_106
; %bb.107:                              ;   in Loop: Header=BB1_94 Depth=1
	s_or_b32 exec_lo, exec_lo, s18
.LBB1_108:                              ;   in Loop: Header=BB1_94 Depth=1
	s_delay_alu instid0(SALU_CYCLE_1)
	s_or_b32 exec_lo, exec_lo, s16
	s_and_saveexec_b32 s2, vcc_lo
	s_cbranch_execz .LBB1_112
; %bb.109:                              ;   in Loop: Header=BB1_94 Depth=1
	v_mov_b32_e32 v19, v7
	s_mov_b32 s16, 0
	s_set_inst_prefetch_distance 0x1
	.p2align	6
.LBB1_110:                              ;   Parent Loop BB1_94 Depth=1
                                        ; =>  This Inner Loop Header: Depth=2
	s_delay_alu instid0(VALU_DEP_1) | instskip(NEXT) | instid1(VALU_DEP_2)
	v_sub_nc_u32_e32 v20, 0, v19
	v_sub_nc_u32_e32 v23, 0, v18
	s_delay_alu instid0(VALU_DEP_2) | instskip(NEXT) | instid1(VALU_DEP_2)
	v_max_i32_e32 v20, v19, v20
	v_max_i32_e32 v23, v18, v23
	v_xor_b32_e32 v18, v18, v19
	v_add_nc_u32_e32 v19, -1, v19
	s_delay_alu instid0(VALU_DEP_4) | instskip(SKIP_1) | instid1(VALU_DEP_4)
	v_cvt_f32_u32_e32 v21, v20
	v_sub_nc_u32_e32 v22, 0, v20
	v_ashrrev_i32_e32 v18, 31, v18
	s_delay_alu instid0(VALU_DEP_3) | instskip(SKIP_2) | instid1(VALU_DEP_1)
	v_rcp_iflag_f32_e32 v21, v21
	s_waitcnt_depctr 0xfff
	v_mul_f32_e32 v21, 0x4f7ffffe, v21
	v_cvt_u32_f32_e32 v21, v21
	s_delay_alu instid0(VALU_DEP_1) | instskip(NEXT) | instid1(VALU_DEP_1)
	v_mul_lo_u32 v22, v22, v21
	v_mul_hi_u32 v22, v21, v22
	s_delay_alu instid0(VALU_DEP_1) | instskip(NEXT) | instid1(VALU_DEP_1)
	v_add_nc_u32_e32 v21, v21, v22
	v_mul_hi_u32 v21, v23, v21
	s_delay_alu instid0(VALU_DEP_1) | instskip(SKIP_1) | instid1(VALU_DEP_2)
	v_mul_lo_u32 v22, v21, v20
	v_add_nc_u32_e32 v24, 1, v21
	v_sub_nc_u32_e32 v22, v23, v22
	s_delay_alu instid0(VALU_DEP_1) | instskip(SKIP_1) | instid1(VALU_DEP_2)
	v_sub_nc_u32_e32 v23, v22, v20
	v_cmp_ge_u32_e32 vcc_lo, v22, v20
	v_dual_cndmask_b32 v22, v22, v23 :: v_dual_cndmask_b32 v21, v21, v24
	s_delay_alu instid0(VALU_DEP_1) | instskip(NEXT) | instid1(VALU_DEP_2)
	v_cmp_ge_u32_e32 vcc_lo, v22, v20
	v_add_nc_u32_e32 v23, 1, v21
	s_delay_alu instid0(VALU_DEP_1) | instskip(SKIP_1) | instid1(VALU_DEP_2)
	v_cndmask_b32_e32 v20, v21, v23, vcc_lo
	v_cmp_eq_u32_e32 vcc_lo, 0, v19
	v_xor_b32_e32 v20, v20, v18
	s_or_b32 s16, vcc_lo, s16
	s_delay_alu instid0(VALU_DEP_1)
	v_sub_nc_u32_e32 v18, v20, v18
	s_and_not1_b32 exec_lo, exec_lo, s16
	s_cbranch_execnz .LBB1_110
; %bb.111:                              ;   in Loop: Header=BB1_94 Depth=1
	s_set_inst_prefetch_distance 0x2
	s_or_b32 exec_lo, exec_lo, s16
.LBB1_112:                              ;   in Loop: Header=BB1_94 Depth=1
	s_delay_alu instid0(SALU_CYCLE_1) | instskip(SKIP_4) | instid1(VALU_DEP_2)
	s_or_b32 exec_lo, exec_lo, s2
	v_sub_nc_u32_e32 v17, v8, v17
	v_mov_b32_e32 v8, 0
	s_mov_b32 s16, 0
	s_mov_b32 s2, exec_lo
	v_dual_mov_b32 v17, 0 :: v_dual_add_nc_u32 v18, v18, v17
	v_cmpx_lt_i32_e32 2, v6
	s_cbranch_execz .LBB1_128
; %bb.113:                              ;   in Loop: Header=BB1_94 Depth=1
	v_dual_mov_b32 v17, 0 :: v_dual_add_nc_u32 v8, -2, v6
	v_mov_b32_e32 v19, s9
	s_mov_b32 s17, 0
	s_delay_alu instid0(VALU_DEP_2)
	v_mov_b32_e32 v20, v8
.LBB1_114:                              ;   Parent Loop BB1_94 Depth=1
                                        ; =>  This Loop Header: Depth=2
                                        ;       Child Loop BB1_116 Depth 3
                                        ;         Child Loop BB1_117 Depth 4
                                        ;         Child Loop BB1_119 Depth 4
                                        ;       Child Loop BB1_123 Depth 3
                                        ;       Child Loop BB1_125 Depth 3
	v_dual_mov_b32 v22, 0 :: v_dual_add_nc_u32 v7, -1, v7
	v_mov_b32_e32 v21, 0
	s_mov_b32 s19, 0
	s_mov_b32 s18, exec_lo
	v_cmpx_lt_i32_e32 0, v18
	s_cbranch_execz .LBB1_122
; %bb.115:                              ;   in Loop: Header=BB1_114 Depth=2
	v_mov_b32_e32 v21, 0
	s_mov_b32 s20, 1
.LBB1_116:                              ;   Parent Loop BB1_94 Depth=1
                                        ;     Parent Loop BB1_114 Depth=2
                                        ; =>    This Loop Header: Depth=3
                                        ;         Child Loop BB1_117 Depth 4
                                        ;         Child Loop BB1_119 Depth 4
	s_delay_alu instid0(SALU_CYCLE_1)
	v_subrev_nc_u32_e32 v23, s20, v19
	v_mov_b32_e32 v22, 1
	v_mov_b32_e32 v24, v20
	s_mov_b32 s21, 0
.LBB1_117:                              ;   Parent Loop BB1_94 Depth=1
                                        ;     Parent Loop BB1_114 Depth=2
                                        ;       Parent Loop BB1_116 Depth=3
                                        ; =>      This Inner Loop Header: Depth=4
	s_delay_alu instid0(VALU_DEP_1) | instskip(NEXT) | instid1(VALU_DEP_3)
	v_add_nc_u32_e32 v24, -1, v24
	v_mul_lo_u32 v22, v22, v23
	v_add_nc_u32_e32 v23, -1, v23
	s_delay_alu instid0(VALU_DEP_3) | instskip(SKIP_1) | instid1(SALU_CYCLE_1)
	v_cmp_eq_u32_e32 vcc_lo, 0, v24
	s_or_b32 s21, vcc_lo, s21
	s_and_not1_b32 exec_lo, exec_lo, s21
	s_cbranch_execnz .LBB1_117
; %bb.118:                              ;   in Loop: Header=BB1_116 Depth=3
	s_or_b32 exec_lo, exec_lo, s21
	v_mov_b32_e32 v23, v7
	s_mov_b32 s21, 0
	s_set_inst_prefetch_distance 0x1
	.p2align	6
.LBB1_119:                              ;   Parent Loop BB1_94 Depth=1
                                        ;     Parent Loop BB1_114 Depth=2
                                        ;       Parent Loop BB1_116 Depth=3
                                        ; =>      This Inner Loop Header: Depth=4
	s_delay_alu instid0(VALU_DEP_1) | instskip(NEXT) | instid1(VALU_DEP_2)
	v_sub_nc_u32_e32 v24, 0, v23
	v_sub_nc_u32_e32 v27, 0, v22
	s_delay_alu instid0(VALU_DEP_2) | instskip(NEXT) | instid1(VALU_DEP_2)
	v_max_i32_e32 v24, v23, v24
	v_max_i32_e32 v27, v22, v27
	v_xor_b32_e32 v22, v22, v23
	v_add_nc_u32_e32 v23, -1, v23
	s_delay_alu instid0(VALU_DEP_4) | instskip(SKIP_1) | instid1(VALU_DEP_4)
	v_cvt_f32_u32_e32 v25, v24
	v_sub_nc_u32_e32 v26, 0, v24
	v_ashrrev_i32_e32 v22, 31, v22
	s_delay_alu instid0(VALU_DEP_3) | instskip(SKIP_2) | instid1(VALU_DEP_1)
	v_rcp_iflag_f32_e32 v25, v25
	s_waitcnt_depctr 0xfff
	v_mul_f32_e32 v25, 0x4f7ffffe, v25
	v_cvt_u32_f32_e32 v25, v25
	s_delay_alu instid0(VALU_DEP_1) | instskip(NEXT) | instid1(VALU_DEP_1)
	v_mul_lo_u32 v26, v26, v25
	v_mul_hi_u32 v26, v25, v26
	s_delay_alu instid0(VALU_DEP_1) | instskip(NEXT) | instid1(VALU_DEP_1)
	v_add_nc_u32_e32 v25, v25, v26
	v_mul_hi_u32 v25, v27, v25
	s_delay_alu instid0(VALU_DEP_1) | instskip(SKIP_1) | instid1(VALU_DEP_2)
	v_mul_lo_u32 v26, v25, v24
	v_add_nc_u32_e32 v28, 1, v25
	v_sub_nc_u32_e32 v26, v27, v26
	s_delay_alu instid0(VALU_DEP_1) | instskip(SKIP_1) | instid1(VALU_DEP_2)
	v_sub_nc_u32_e32 v27, v26, v24
	v_cmp_ge_u32_e32 vcc_lo, v26, v24
	v_dual_cndmask_b32 v26, v26, v27 :: v_dual_cndmask_b32 v25, v25, v28
	s_delay_alu instid0(VALU_DEP_1) | instskip(NEXT) | instid1(VALU_DEP_2)
	v_cmp_ge_u32_e32 vcc_lo, v26, v24
	v_add_nc_u32_e32 v27, 1, v25
	s_delay_alu instid0(VALU_DEP_1) | instskip(SKIP_1) | instid1(VALU_DEP_2)
	v_cndmask_b32_e32 v24, v25, v27, vcc_lo
	v_cmp_eq_u32_e32 vcc_lo, 0, v23
	v_xor_b32_e32 v24, v24, v22
	s_or_b32 s21, vcc_lo, s21
	s_delay_alu instid0(VALU_DEP_1)
	v_sub_nc_u32_e32 v22, v24, v22
	s_and_not1_b32 exec_lo, exec_lo, s21
	s_cbranch_execnz .LBB1_119
; %bb.120:                              ;   in Loop: Header=BB1_116 Depth=3
	s_set_inst_prefetch_distance 0x2
	s_or_b32 exec_lo, exec_lo, s21
	v_dual_mov_b32 v22, s20 :: v_dual_add_nc_u32 v21, v22, v21
	s_add_i32 s20, s20, 1
	s_delay_alu instid0(VALU_DEP_1) | instskip(SKIP_1) | instid1(SALU_CYCLE_1)
	v_cmp_ge_i32_e32 vcc_lo, v21, v18
	s_or_b32 s19, vcc_lo, s19
	s_and_not1_b32 exec_lo, exec_lo, s19
	s_cbranch_execnz .LBB1_116
; %bb.121:                              ;   in Loop: Header=BB1_114 Depth=2
	s_or_b32 exec_lo, exec_lo, s19
.LBB1_122:                              ;   in Loop: Header=BB1_114 Depth=2
	s_delay_alu instid0(SALU_CYCLE_1)
	s_or_b32 exec_lo, exec_lo, s18
	v_sub_nc_u32_e32 v19, v19, v22
	v_mov_b32_e32 v23, 1
	s_mov_b32 s18, 0
	s_mov_b32 s19, 0
.LBB1_123:                              ;   Parent Loop BB1_94 Depth=1
                                        ;     Parent Loop BB1_114 Depth=2
                                        ; =>    This Inner Loop Header: Depth=3
	s_delay_alu instid0(VALU_DEP_2) | instid1(SALU_CYCLE_1)
	v_add_nc_u32_e32 v24, s19, v19
	s_add_i32 s19, s19, -1
	s_delay_alu instid0(SALU_CYCLE_1) | instskip(NEXT) | instid1(VALU_DEP_2)
	v_add_nc_u32_e32 v25, s19, v20
	v_mul_lo_u32 v23, v23, v24
	s_delay_alu instid0(VALU_DEP_2) | instskip(SKIP_1) | instid1(SALU_CYCLE_1)
	v_cmp_eq_u32_e32 vcc_lo, 0, v25
	s_or_b32 s18, vcc_lo, s18
	s_and_not1_b32 exec_lo, exec_lo, s18
	s_cbranch_execnz .LBB1_123
; %bb.124:                              ;   in Loop: Header=BB1_114 Depth=2
	s_or_b32 exec_lo, exec_lo, s18
	v_mov_b32_e32 v24, v7
	s_mov_b32 s18, 0
	s_set_inst_prefetch_distance 0x1
	.p2align	6
.LBB1_125:                              ;   Parent Loop BB1_94 Depth=1
                                        ;     Parent Loop BB1_114 Depth=2
                                        ; =>    This Inner Loop Header: Depth=3
	s_delay_alu instid0(VALU_DEP_1) | instskip(NEXT) | instid1(VALU_DEP_2)
	v_sub_nc_u32_e32 v25, 0, v24
	v_sub_nc_u32_e32 v28, 0, v23
	s_delay_alu instid0(VALU_DEP_2) | instskip(NEXT) | instid1(VALU_DEP_2)
	v_max_i32_e32 v25, v24, v25
	v_max_i32_e32 v28, v23, v28
	v_xor_b32_e32 v23, v23, v24
	v_add_nc_u32_e32 v24, -1, v24
	s_delay_alu instid0(VALU_DEP_4) | instskip(SKIP_1) | instid1(VALU_DEP_4)
	v_cvt_f32_u32_e32 v26, v25
	v_sub_nc_u32_e32 v27, 0, v25
	v_ashrrev_i32_e32 v23, 31, v23
	s_delay_alu instid0(VALU_DEP_3) | instskip(SKIP_2) | instid1(VALU_DEP_1)
	v_rcp_iflag_f32_e32 v26, v26
	s_waitcnt_depctr 0xfff
	v_mul_f32_e32 v26, 0x4f7ffffe, v26
	v_cvt_u32_f32_e32 v26, v26
	s_delay_alu instid0(VALU_DEP_1) | instskip(NEXT) | instid1(VALU_DEP_1)
	v_mul_lo_u32 v27, v27, v26
	v_mul_hi_u32 v27, v26, v27
	s_delay_alu instid0(VALU_DEP_1) | instskip(NEXT) | instid1(VALU_DEP_1)
	v_add_nc_u32_e32 v26, v26, v27
	v_mul_hi_u32 v26, v28, v26
	s_delay_alu instid0(VALU_DEP_1) | instskip(SKIP_1) | instid1(VALU_DEP_2)
	v_mul_lo_u32 v27, v26, v25
	v_add_nc_u32_e32 v29, 1, v26
	v_sub_nc_u32_e32 v27, v28, v27
	s_delay_alu instid0(VALU_DEP_1) | instskip(SKIP_1) | instid1(VALU_DEP_2)
	v_sub_nc_u32_e32 v28, v27, v25
	v_cmp_ge_u32_e32 vcc_lo, v27, v25
	v_dual_cndmask_b32 v27, v27, v28 :: v_dual_cndmask_b32 v26, v26, v29
	s_delay_alu instid0(VALU_DEP_1) | instskip(NEXT) | instid1(VALU_DEP_2)
	v_cmp_ge_u32_e32 vcc_lo, v27, v25
	v_add_nc_u32_e32 v28, 1, v26
	s_delay_alu instid0(VALU_DEP_1) | instskip(SKIP_1) | instid1(VALU_DEP_2)
	v_cndmask_b32_e32 v25, v26, v28, vcc_lo
	v_cmp_eq_u32_e32 vcc_lo, 0, v24
	v_xor_b32_e32 v25, v25, v23
	s_or_b32 s18, vcc_lo, s18
	s_delay_alu instid0(VALU_DEP_1)
	v_sub_nc_u32_e32 v23, v25, v23
	s_and_not1_b32 exec_lo, exec_lo, s18
	s_cbranch_execnz .LBB1_125
; %bb.126:                              ;   in Loop: Header=BB1_114 Depth=2
	s_set_inst_prefetch_distance 0x2
	s_or_b32 exec_lo, exec_lo, s18
	v_sub_nc_u32_e32 v18, v18, v21
	s_add_i32 s18, s17, 1
	v_add_nc_u32_e32 v17, v22, v17
	v_cmp_eq_u32_e32 vcc_lo, s18, v8
	s_lshl_b32 s17, s17, 2
	v_add_nc_u32_e32 v18, v23, v18
	v_add_nc_u32_e32 v20, -1, v20
	s_add_i32 s19, s17, 0xc0
	s_or_b32 s16, vcc_lo, s16
	s_mov_b32 s17, s18
	scratch_store_b32 off, v17, s19
	s_and_not1_b32 exec_lo, exec_lo, s16
	s_cbranch_execnz .LBB1_114
; %bb.127:                              ;   in Loop: Header=BB1_94 Depth=1
	s_or_b32 exec_lo, exec_lo, s16
.LBB1_128:                              ;   in Loop: Header=BB1_94 Depth=1
	s_delay_alu instid0(SALU_CYCLE_1) | instskip(NEXT) | instid1(VALU_DEP_2)
	s_or_b32 exec_lo, exec_lo, s2
	v_add_nc_u32_e32 v7, v17, v18
	v_lshl_add_u32 v17, v8, 2, 0xc0
	s_mov_b32 s2, exec_lo
	scratch_store_b32 v17, v7, off
	v_cmpx_gt_u32_e32 3, v8
	s_cbranch_execz .LBB1_131
; %bb.129:                              ;   in Loop: Header=BB1_94 Depth=1
	v_max_i32_e32 v7, 2, v6
	s_mov_b32 s16, 0
	s_delay_alu instid0(VALU_DEP_1)
	v_lshl_add_u32 v6, v7, 2, v14
	v_add_nc_u32_e32 v7, -3, v7
.LBB1_130:                              ;   Parent Loop BB1_94 Depth=1
                                        ; =>  This Inner Loop Header: Depth=2
	s_delay_alu instid0(VALU_DEP_1) | instskip(SKIP_4) | instid1(SALU_CYCLE_1)
	v_add_nc_u32_e32 v7, 1, v7
	scratch_store_b32 v6, v5, off
	v_add_nc_u32_e32 v6, 4, v6
	v_cmp_lt_u32_e32 vcc_lo, 1, v7
	s_or_b32 s16, vcc_lo, s16
	s_and_not1_b32 exec_lo, exec_lo, s16
	s_cbranch_execnz .LBB1_130
.LBB1_131:                              ;   in Loop: Header=BB1_94 Depth=1
	s_or_b32 exec_lo, exec_lo, s2
.LBB1_132:                              ;   in Loop: Header=BB1_94 Depth=1
	s_and_not1_saveexec_b32 s2, s3
	s_cbranch_execz .LBB1_134
; %bb.133:                              ;   in Loop: Header=BB1_94 Depth=1
	v_mov_b32_e32 v6, v5
	v_mov_b32_e32 v7, v5
	v_mov_b32_e32 v8, v5
	scratch_store_b128 off, v[5:8], off offset:192
.LBB1_134:                              ;   in Loop: Header=BB1_94 Depth=1
	s_or_b32 exec_lo, exec_lo, s2
	scratch_load_b32 v6, off, off offset:192
	v_dual_mov_b32 v8, 0xc0 :: v_dual_mov_b32 v17, 0
	s_mov_b32 s2, 0
	s_waitcnt vmcnt(0)
	v_cmp_lt_i32_e32 vcc_lo, -1, v6
	s_and_saveexec_b32 s16, vcc_lo
	s_cbranch_execz .LBB1_142
; %bb.135:                              ;   in Loop: Header=BB1_94 Depth=1
	v_lshl_add_u32 v7, v6, 2, 0
	v_dual_mov_b32 v17, 1 :: v_dual_mov_b32 v8, v10
	s_mov_b32 s17, exec_lo
	scratch_load_b32 v6, off, off offset:196
	scratch_load_b32 v7, v7, off
	s_waitcnt vmcnt(0)
	v_cmp_ge_i32_e64 s3, s10, v7
	s_delay_alu instid0(VALU_DEP_1)
	v_add_co_ci_u32_e64 v7, s3, 0, v7, s3
	s_mov_b32 s3, -1
	scratch_store_b32 off, v7, off offset:192
	v_cmpx_lt_i32_e32 -1, v6
	s_cbranch_execz .LBB1_141
; %bb.136:                              ;   in Loop: Header=BB1_94 Depth=1
	v_lshl_add_u32 v7, v6, 2, 0
	v_dual_mov_b32 v17, 2 :: v_dual_mov_b32 v8, v11
	s_mov_b32 s18, exec_lo
	scratch_load_b32 v6, off, off offset:200
	scratch_load_b32 v7, v7, off
	s_waitcnt vmcnt(0)
	v_cmp_ge_i32_e64 s3, s10, v7
	s_delay_alu instid0(VALU_DEP_1)
	v_add_co_ci_u32_e64 v7, s3, 0, v7, s3
	scratch_store_b32 off, v7, off offset:196
	v_cmpx_lt_i32_e32 -1, v6
	s_cbranch_execz .LBB1_140
; %bb.137:                              ;   in Loop: Header=BB1_94 Depth=1
	v_lshl_add_u32 v7, v6, 2, 0
	v_dual_mov_b32 v17, 3 :: v_dual_mov_b32 v8, v12
	scratch_load_b32 v6, off, off offset:204
	scratch_load_b32 v7, v7, off
	s_waitcnt vmcnt(0)
	v_cmp_ge_i32_e64 s3, s10, v7
	s_delay_alu instid0(VALU_DEP_1)
	v_add_co_ci_u32_e64 v7, s3, 0, v7, s3
	s_mov_b32 s3, exec_lo
	scratch_store_b32 off, v7, off offset:200
	v_cmpx_lt_i32_e32 -1, v6
	s_cbranch_execz .LBB1_139
; %bb.138:                              ;   in Loop: Header=BB1_94 Depth=1
	v_lshl_add_u32 v6, v6, 2, 0
	v_dual_mov_b32 v17, 4 :: v_dual_mov_b32 v8, v13
	scratch_load_b32 v6, v6, off
	s_waitcnt vmcnt(0)
	v_cmp_ge_i32_e64 s2, s10, v6
	s_delay_alu instid0(VALU_DEP_1)
	v_add_co_ci_u32_e64 v6, s2, 0, v6, s2
	scratch_store_b32 off, v6, off offset:204
.LBB1_139:                              ;   in Loop: Header=BB1_94 Depth=1
	s_or_b32 exec_lo, exec_lo, s3
.LBB1_140:                              ;   in Loop: Header=BB1_94 Depth=1
	s_delay_alu instid0(SALU_CYCLE_1) | instskip(NEXT) | instid1(SALU_CYCLE_1)
	s_or_b32 exec_lo, exec_lo, s18
	s_xor_b32 s3, exec_lo, -1
.LBB1_141:                              ;   in Loop: Header=BB1_94 Depth=1
	s_or_b32 exec_lo, exec_lo, s17
	s_delay_alu instid0(SALU_CYCLE_1)
	s_and_b32 s2, s3, exec_lo
.LBB1_142:                              ;   in Loop: Header=BB1_94 Depth=1
	s_or_b32 exec_lo, exec_lo, s16
                                        ; implicit-def: $vgpr6
	s_and_saveexec_b32 s3, vcc_lo
	s_delay_alu instid0(SALU_CYCLE_1)
	s_xor_b32 s3, exec_lo, s3
	s_cbranch_execz .LBB1_168
; %bb.143:                              ;   in Loop: Header=BB1_94 Depth=1
	v_lshl_add_u32 v6, v17, 2, v14
	v_add_nc_u32_e32 v7, 1, v17
	s_xor_b32 s2, s2, -1
	s_mov_b32 s16, 0
.LBB1_144:                              ;   Parent Loop BB1_94 Depth=1
                                        ; =>  This Inner Loop Header: Depth=2
	scratch_load_b32 v18, v6, off
	v_add_nc_u32_e32 v7, -1, v7
	v_add_nc_u32_e32 v19, 4, v6
	v_add_nc_u32_e32 v6, -4, v6
	s_delay_alu instid0(VALU_DEP_3)
	v_cmp_gt_u32_e32 vcc_lo, 2, v7
	s_or_b32 s16, vcc_lo, s16
	s_waitcnt vmcnt(0)
	scratch_store_b32 v19, v18, off
	s_and_not1_b32 exec_lo, exec_lo, s16
	s_cbranch_execnz .LBB1_144
; %bb.145:                              ;   in Loop: Header=BB1_94 Depth=1
	s_or_b32 exec_lo, exec_lo, s16
	v_mov_b32_e32 v18, 0
	scratch_store_b32 off, v15, off offset:192
	s_and_saveexec_b32 s16, s2
	s_cbranch_execz .LBB1_153
; %bb.146:                              ;   in Loop: Header=BB1_94 Depth=1
	s_mov_b32 s18, 1
	s_mov_b32 s17, 0
	;; [unrolled: 1-line block ×3, first 2 shown]
	s_set_inst_prefetch_distance 0x1
	.p2align	6
.LBB1_147:                              ;   Parent Loop BB1_94 Depth=1
                                        ; =>  This Loop Header: Depth=2
                                        ;       Child Loop BB1_148 Depth 3
                                        ;       Child Loop BB1_150 Depth 3
	s_mov_b32 s21, 44
	s_mov_b32 s20, 1
.LBB1_148:                              ;   Parent Loop BB1_94 Depth=1
                                        ;     Parent Loop BB1_147 Depth=2
                                        ; =>    This Inner Loop Header: Depth=3
	s_delay_alu instid0(SALU_CYCLE_1) | instskip(SKIP_1) | instid1(SALU_CYCLE_1)
	s_mul_i32 s20, s20, s21
	s_add_i32 s21, s21, -1
	s_add_i32 s22, s18, s21
	s_delay_alu instid0(SALU_CYCLE_1)
	s_cmp_lg_u32 s22, 44
	s_cbranch_scc1 .LBB1_148
; %bb.149:                              ;   in Loop: Header=BB1_147 Depth=2
	s_mov_b32 s21, s18
	.p2align	6
.LBB1_150:                              ;   Parent Loop BB1_94 Depth=1
                                        ;     Parent Loop BB1_147 Depth=2
                                        ; =>    This Inner Loop Header: Depth=3
	s_delay_alu instid0(SALU_CYCLE_1) | instskip(SKIP_4) | instid1(SALU_CYCLE_1)
	s_abs_i32 s22, s21
	s_abs_i32 s25, s20
	v_cvt_f32_u32_e32 v6, s22
	s_sub_i32 s24, 0, s22
	s_xor_b32 s20, s20, s21
	s_ashr_i32 s20, s20, 31
	s_delay_alu instid0(VALU_DEP_1) | instskip(SKIP_2) | instid1(VALU_DEP_1)
	v_rcp_iflag_f32_e32 v6, v6
	s_waitcnt_depctr 0xfff
	v_mul_f32_e32 v6, 0x4f7ffffe, v6
	v_cvt_u32_f32_e32 v6, v6
	s_delay_alu instid0(VALU_DEP_1) | instskip(NEXT) | instid1(VALU_DEP_1)
	v_readfirstlane_b32 s23, v6
	s_mul_i32 s24, s24, s23
	s_delay_alu instid0(SALU_CYCLE_1) | instskip(NEXT) | instid1(SALU_CYCLE_1)
	s_mul_hi_u32 s24, s23, s24
	s_add_i32 s23, s23, s24
	s_delay_alu instid0(SALU_CYCLE_1) | instskip(NEXT) | instid1(SALU_CYCLE_1)
	s_mul_hi_u32 s23, s25, s23
	s_mul_i32 s24, s23, s22
	s_delay_alu instid0(SALU_CYCLE_1)
	s_sub_i32 s24, s25, s24
	s_add_i32 s25, s23, 1
	s_sub_i32 s26, s24, s22
	s_cmp_ge_u32 s24, s22
	s_cselect_b32 s23, s25, s23
	s_cselect_b32 s24, s26, s24
	s_add_i32 s25, s23, 1
	s_cmp_ge_u32 s24, s22
	s_cselect_b32 s22, s25, s23
	s_add_i32 s21, s21, -1
	s_xor_b32 s22, s22, s20
	s_delay_alu instid0(SALU_CYCLE_1)
	s_sub_i32 s20, s22, s20
	s_cmp_lg_u32 s21, 0
	s_cbranch_scc1 .LBB1_150
; %bb.151:                              ;   in Loop: Header=BB1_147 Depth=2
	s_add_i32 s18, s18, 1
	s_add_i32 s19, s20, s19
	v_cmp_eq_u32_e32 vcc_lo, s18, v17
	v_mov_b32_e32 v18, s19
	s_or_b32 s17, vcc_lo, s17
	s_delay_alu instid0(SALU_CYCLE_1)
	s_and_not1_b32 exec_lo, exec_lo, s17
	s_cbranch_execnz .LBB1_147
; %bb.152:                              ;   in Loop: Header=BB1_94 Depth=1
	s_set_inst_prefetch_distance 0x2
	s_or_b32 exec_lo, exec_lo, s17
.LBB1_153:                              ;   in Loop: Header=BB1_94 Depth=1
	s_delay_alu instid0(SALU_CYCLE_1)
	s_or_b32 exec_lo, exec_lo, s16
	s_and_saveexec_b32 s16, s2
	s_cbranch_execz .LBB1_170
; %bb.154:                              ;   in Loop: Header=BB1_94 Depth=1
	s_mov_b32 s18, 1
	s_mov_b32 s17, 0
	s_branch .LBB1_157
.LBB1_155:                              ;   in Loop: Header=BB1_157 Depth=2
	s_or_b32 exec_lo, exec_lo, s20
.LBB1_156:                              ;   in Loop: Header=BB1_157 Depth=2
	s_delay_alu instid0(SALU_CYCLE_1) | instskip(SKIP_1) | instid1(SALU_CYCLE_1)
	s_or_b32 exec_lo, exec_lo, s19
	s_add_i32 s18, s18, 1
	v_cmp_eq_u32_e32 vcc_lo, s18, v17
	s_or_b32 s17, vcc_lo, s17
	s_delay_alu instid0(SALU_CYCLE_1)
	s_and_not1_b32 exec_lo, exec_lo, s17
	s_cbranch_execz .LBB1_169
.LBB1_157:                              ;   Parent Loop BB1_94 Depth=1
                                        ; =>  This Loop Header: Depth=2
                                        ;       Child Loop BB1_160 Depth 3
                                        ;         Child Loop BB1_162 Depth 4
                                        ;         Child Loop BB1_166 Depth 4
	s_lshl_b32 s2, s18, 2
	s_mov_b32 s19, exec_lo
	s_addk_i32 s2, 0xc0
	scratch_load_b64 v[6:7], off, s2 offset:-4
	s_waitcnt vmcnt(0)
	v_add_nc_u32_e32 v7, -1, v7
	s_delay_alu instid0(VALU_DEP_1)
	v_cmpx_lt_i32_e64 v6, v7
	s_cbranch_execz .LBB1_156
; %bb.158:                              ;   in Loop: Header=BB1_157 Depth=2
	v_subrev_nc_u32_e32 v19, s18, v17
	s_mov_b32 s20, 0
	s_delay_alu instid0(VALU_DEP_1)
	v_cmp_lt_i32_e32 vcc_lo, 0, v19
	s_branch .LBB1_160
.LBB1_159:                              ;   in Loop: Header=BB1_160 Depth=3
	s_or_b32 exec_lo, exec_lo, s21
	v_add_nc_u32_e32 v6, 1, v6
	v_add_nc_u32_e32 v18, v20, v18
	s_delay_alu instid0(VALU_DEP_2) | instskip(NEXT) | instid1(VALU_DEP_1)
	v_cmp_ge_i32_e64 s2, v6, v7
	s_or_b32 s20, s2, s20
	s_delay_alu instid0(SALU_CYCLE_1)
	s_and_not1_b32 exec_lo, exec_lo, s20
	s_cbranch_execz .LBB1_155
.LBB1_160:                              ;   Parent Loop BB1_94 Depth=1
                                        ;     Parent Loop BB1_157 Depth=2
                                        ; =>    This Loop Header: Depth=3
                                        ;         Child Loop BB1_162 Depth 4
                                        ;         Child Loop BB1_166 Depth 4
	v_mov_b32_e32 v20, 1
	s_and_saveexec_b32 s21, vcc_lo
	s_cbranch_execz .LBB1_164
; %bb.161:                              ;   in Loop: Header=BB1_160 Depth=3
	v_sub_nc_u32_e32 v21, 43, v6
	v_mov_b32_e32 v20, 1
	v_mov_b32_e32 v22, v17
	s_mov_b32 s22, 0
.LBB1_162:                              ;   Parent Loop BB1_94 Depth=1
                                        ;     Parent Loop BB1_157 Depth=2
                                        ;       Parent Loop BB1_160 Depth=3
                                        ; =>      This Inner Loop Header: Depth=4
	s_delay_alu instid0(VALU_DEP_1) | instskip(NEXT) | instid1(VALU_DEP_3)
	v_add_nc_u32_e32 v22, -1, v22
	v_mul_lo_u32 v20, v20, v21
	v_add_nc_u32_e32 v21, -1, v21
	s_delay_alu instid0(VALU_DEP_3) | instskip(NEXT) | instid1(VALU_DEP_1)
	v_cmp_eq_u32_e64 s2, s18, v22
	s_or_b32 s22, s2, s22
	s_delay_alu instid0(SALU_CYCLE_1)
	s_and_not1_b32 exec_lo, exec_lo, s22
	s_cbranch_execnz .LBB1_162
; %bb.163:                              ;   in Loop: Header=BB1_160 Depth=3
	s_or_b32 exec_lo, exec_lo, s22
.LBB1_164:                              ;   in Loop: Header=BB1_160 Depth=3
	s_delay_alu instid0(SALU_CYCLE_1)
	s_or_b32 exec_lo, exec_lo, s21
	s_and_saveexec_b32 s21, vcc_lo
	s_cbranch_execz .LBB1_159
; %bb.165:                              ;   in Loop: Header=BB1_160 Depth=3
	v_mov_b32_e32 v21, v19
	s_mov_b32 s22, 0
	s_set_inst_prefetch_distance 0x1
	.p2align	6
.LBB1_166:                              ;   Parent Loop BB1_94 Depth=1
                                        ;     Parent Loop BB1_157 Depth=2
                                        ;       Parent Loop BB1_160 Depth=3
                                        ; =>      This Inner Loop Header: Depth=4
	s_delay_alu instid0(VALU_DEP_1) | instskip(NEXT) | instid1(VALU_DEP_2)
	v_sub_nc_u32_e32 v22, 0, v21
	v_sub_nc_u32_e32 v25, 0, v20
	s_delay_alu instid0(VALU_DEP_2) | instskip(NEXT) | instid1(VALU_DEP_2)
	v_max_i32_e32 v22, v21, v22
	v_max_i32_e32 v25, v20, v25
	v_xor_b32_e32 v20, v20, v21
	v_add_nc_u32_e32 v21, -1, v21
	s_delay_alu instid0(VALU_DEP_4) | instskip(SKIP_1) | instid1(VALU_DEP_4)
	v_cvt_f32_u32_e32 v23, v22
	v_sub_nc_u32_e32 v24, 0, v22
	v_ashrrev_i32_e32 v20, 31, v20
	s_delay_alu instid0(VALU_DEP_3) | instskip(SKIP_2) | instid1(VALU_DEP_1)
	v_rcp_iflag_f32_e32 v23, v23
	s_waitcnt_depctr 0xfff
	v_mul_f32_e32 v23, 0x4f7ffffe, v23
	v_cvt_u32_f32_e32 v23, v23
	s_delay_alu instid0(VALU_DEP_1) | instskip(NEXT) | instid1(VALU_DEP_1)
	v_mul_lo_u32 v24, v24, v23
	v_mul_hi_u32 v24, v23, v24
	s_delay_alu instid0(VALU_DEP_1) | instskip(NEXT) | instid1(VALU_DEP_1)
	v_add_nc_u32_e32 v23, v23, v24
	v_mul_hi_u32 v23, v25, v23
	s_delay_alu instid0(VALU_DEP_1) | instskip(SKIP_1) | instid1(VALU_DEP_2)
	v_mul_lo_u32 v24, v23, v22
	v_add_nc_u32_e32 v26, 1, v23
	v_sub_nc_u32_e32 v24, v25, v24
	s_delay_alu instid0(VALU_DEP_1) | instskip(SKIP_1) | instid1(VALU_DEP_1)
	v_sub_nc_u32_e32 v25, v24, v22
	v_cmp_ge_u32_e64 s2, v24, v22
	v_cndmask_b32_e64 v23, v23, v26, s2
	s_delay_alu instid0(VALU_DEP_3) | instskip(NEXT) | instid1(VALU_DEP_2)
	v_cndmask_b32_e64 v24, v24, v25, s2
	v_add_nc_u32_e32 v25, 1, v23
	s_delay_alu instid0(VALU_DEP_2) | instskip(NEXT) | instid1(VALU_DEP_1)
	v_cmp_ge_u32_e64 s2, v24, v22
	v_cndmask_b32_e64 v22, v23, v25, s2
	v_cmp_eq_u32_e64 s2, 0, v21
	s_delay_alu instid0(VALU_DEP_2) | instskip(NEXT) | instid1(VALU_DEP_2)
	v_xor_b32_e32 v22, v22, v20
	s_or_b32 s22, s2, s22
	s_delay_alu instid0(VALU_DEP_1)
	v_sub_nc_u32_e32 v20, v22, v20
	s_and_not1_b32 exec_lo, exec_lo, s22
	s_cbranch_execnz .LBB1_166
; %bb.167:                              ;   in Loop: Header=BB1_160 Depth=3
	s_set_inst_prefetch_distance 0x2
	s_or_b32 exec_lo, exec_lo, s22
	s_branch .LBB1_159
.LBB1_168:                              ;   in Loop: Header=BB1_94 Depth=1
	s_and_not1_saveexec_b32 s2, s3
	s_cbranch_execz .LBB1_92
	s_branch .LBB1_171
.LBB1_169:                              ;   in Loop: Header=BB1_94 Depth=1
	s_or_b32 exec_lo, exec_lo, s17
.LBB1_170:                              ;   in Loop: Header=BB1_94 Depth=1
	s_delay_alu instid0(SALU_CYCLE_1) | instskip(SKIP_3) | instid1(VALU_DEP_1)
	s_or_b32 exec_lo, exec_lo, s16
	scratch_load_b64 v[6:7], v8, off offset:-4
	s_waitcnt vmcnt(0)
	v_add_nc_u32_e32 v7, v7, v18
	v_sub_nc_u32_e32 v6, v7, v6
	s_and_not1_saveexec_b32 s2, s3
	s_cbranch_execz .LBB1_92
.LBB1_171:                              ;   in Loop: Header=BB1_94 Depth=1
	v_mov_b32_e32 v6, 0
	scratch_store_b32 off, v15, off offset:192
	s_branch .LBB1_92
.LBB1_172:
	s_or_b32 exec_lo, exec_lo, s12
	s_branch .LBB1_174
.LBB1_173:
	v_dual_mov_b32 v9, 0xd8635fa9 :: v_dual_mov_b32 v2, 0
	v_mov_b32_e32 v3, 0
	v_mov_b32_e32 v1, 0
.LBB1_174:
	v_lshl_add_u32 v8, v0, 2, 0
	v_cvt_f32_u32_e32 v7, v0
	s_mov_b32 s4, 0
	s_mov_b32 s5, exec_lo
	ds_store_b32 v8, v9
	s_waitcnt lgkmcnt(0)
	s_waitcnt_vscnt null, 0x0
	s_barrier
	buffer_gl0_inv
	v_cmpx_gt_u32_e32 0x80, v0
	s_cbranch_execz .LBB1_183
; %bb.175:
	ds_load_2addr_stride64_b32 v[5:6], v8 offset1:2
                                        ; implicit-def: $vgpr9
	s_waitcnt lgkmcnt(0)
	v_cmp_ngt_f32_e64 s2, v6, v5
	v_cmp_ngt_f32_e64 s3, 0, v6
	v_cmp_gt_f32_e32 vcc_lo, 0, v6
	s_delay_alu instid0(VALU_DEP_2)
	s_or_b32 s3, s3, s2
	s_mov_b32 s2, -1
	s_and_saveexec_b32 s6, s3
	s_cbranch_execz .LBB1_254
; %bb.176:
	v_cmp_nlt_f32_e64 s3, v6, v5
	v_cmp_ngt_f32_e64 s4, 0, v5
	v_cmp_gt_f32_e64 s2, 0, v5
	v_mov_b32_e32 v9, v7
	s_mov_b32 s7, 0
	s_delay_alu instid0(VALU_DEP_3)
	s_or_b32 s9, s3, s4
	s_mov_b32 s3, -1
	s_and_saveexec_b32 s4, s9
	s_cbranch_execz .LBB1_180
; %bb.177:
	v_cmp_nlt_f32_e64 s3, 0, v5
	s_xor_b32 s10, vcc_lo, -1
	s_mov_b32 s9, -1
	s_delay_alu instid0(VALU_DEP_1) | instskip(NEXT) | instid1(SALU_CYCLE_1)
	s_or_b32 s10, s10, s3
	s_and_saveexec_b32 s3, s10
; %bb.178:
	v_cmp_lt_f32_e32 vcc_lo, 0, v6
	s_xor_b32 s9, exec_lo, -1
	s_and_b32 s2, vcc_lo, s2
	s_delay_alu instid0(SALU_CYCLE_1)
	s_and_b32 s7, s2, exec_lo
; %bb.179:
	s_or_b32 exec_lo, exec_lo, s3
	v_mov_b32_e32 v9, v7
	s_or_not1_b32 s3, s7, exec_lo
	s_and_b32 s7, s9, exec_lo
.LBB1_180:
	s_or_b32 exec_lo, exec_lo, s4
	s_delay_alu instid0(SALU_CYCLE_1)
	s_and_b32 s4, s3, exec_lo
	s_or_not1_b32 s2, s7, exec_lo
	s_or_b32 exec_lo, exec_lo, s6
	s_and_saveexec_b32 s3, s2
	s_cbranch_execnz .LBB1_255
.LBB1_181:
	s_or_b32 exec_lo, exec_lo, s3
	s_delay_alu instid0(SALU_CYCLE_1)
	s_and_b32 exec_lo, exec_lo, s4
	s_cbranch_execz .LBB1_183
.LBB1_182:
	ds_store_b32 v8, v9 offset:512
.LBB1_183:
	s_or_b32 exec_lo, exec_lo, s5
	s_delay_alu instid0(SALU_CYCLE_1)
	s_mov_b32 s5, exec_lo
	s_waitcnt lgkmcnt(0)
	s_barrier
	buffer_gl0_inv
	v_cmpx_gt_u32_e32 64, v0
	s_cbranch_execz .LBB1_192
; %bb.184:
	ds_load_2addr_stride64_b32 v[5:6], v8 offset1:1
	s_mov_b32 s4, 0
                                        ; implicit-def: $vgpr9
	s_waitcnt lgkmcnt(0)
	v_cmp_ngt_f32_e64 s2, v6, v5
	v_cmp_ngt_f32_e64 s3, 0, v6
	v_cmp_gt_f32_e32 vcc_lo, 0, v6
	s_delay_alu instid0(VALU_DEP_2)
	s_or_b32 s3, s3, s2
	s_mov_b32 s2, -1
	s_and_saveexec_b32 s6, s3
	s_cbranch_execz .LBB1_256
; %bb.185:
	v_cmp_nlt_f32_e64 s3, v6, v5
	v_cmp_ngt_f32_e64 s4, 0, v5
	v_cmp_gt_f32_e64 s2, 0, v5
	v_mov_b32_e32 v9, v7
	s_mov_b32 s7, 0
	s_delay_alu instid0(VALU_DEP_3)
	s_or_b32 s9, s3, s4
	s_mov_b32 s3, -1
	s_and_saveexec_b32 s4, s9
	s_cbranch_execz .LBB1_189
; %bb.186:
	v_cmp_nlt_f32_e64 s3, 0, v5
	s_xor_b32 s10, vcc_lo, -1
	s_mov_b32 s9, -1
	s_delay_alu instid0(VALU_DEP_1) | instskip(NEXT) | instid1(SALU_CYCLE_1)
	s_or_b32 s10, s10, s3
	s_and_saveexec_b32 s3, s10
; %bb.187:
	v_cmp_lt_f32_e32 vcc_lo, 0, v6
	s_xor_b32 s9, exec_lo, -1
	s_and_b32 s2, vcc_lo, s2
	s_delay_alu instid0(SALU_CYCLE_1)
	s_and_b32 s7, s2, exec_lo
; %bb.188:
	s_or_b32 exec_lo, exec_lo, s3
	v_mov_b32_e32 v9, v7
	s_or_not1_b32 s3, s7, exec_lo
	s_and_b32 s7, s9, exec_lo
.LBB1_189:
	s_or_b32 exec_lo, exec_lo, s4
	s_delay_alu instid0(SALU_CYCLE_1)
	s_and_b32 s4, s3, exec_lo
	s_or_not1_b32 s2, s7, exec_lo
	s_or_b32 exec_lo, exec_lo, s6
	s_and_saveexec_b32 s3, s2
	s_cbranch_execnz .LBB1_257
.LBB1_190:
	s_or_b32 exec_lo, exec_lo, s3
	s_delay_alu instid0(SALU_CYCLE_1)
	s_and_b32 exec_lo, exec_lo, s4
	s_cbranch_execz .LBB1_192
.LBB1_191:
	ds_store_b32 v8, v9 offset:256
.LBB1_192:
	s_or_b32 exec_lo, exec_lo, s5
	s_delay_alu instid0(SALU_CYCLE_1)
	s_mov_b32 s5, exec_lo
	s_waitcnt lgkmcnt(0)
	s_barrier
	buffer_gl0_inv
	v_cmpx_gt_u32_e32 32, v0
	s_cbranch_execz .LBB1_201
; %bb.193:
	ds_load_2addr_b32 v[5:6], v8 offset1:32
	s_mov_b32 s4, 0
                                        ; implicit-def: $vgpr9
	s_waitcnt lgkmcnt(0)
	v_cmp_ngt_f32_e64 s2, v6, v5
	v_cmp_ngt_f32_e64 s3, 0, v6
	v_cmp_gt_f32_e32 vcc_lo, 0, v6
	s_delay_alu instid0(VALU_DEP_2)
	s_or_b32 s3, s3, s2
	s_mov_b32 s2, -1
	s_and_saveexec_b32 s6, s3
	s_cbranch_execz .LBB1_258
; %bb.194:
	v_cmp_nlt_f32_e64 s3, v6, v5
	v_cmp_ngt_f32_e64 s4, 0, v5
	v_cmp_gt_f32_e64 s2, 0, v5
	v_mov_b32_e32 v9, v7
	s_mov_b32 s7, 0
	s_delay_alu instid0(VALU_DEP_3)
	s_or_b32 s9, s3, s4
	s_mov_b32 s3, -1
	s_and_saveexec_b32 s4, s9
	s_cbranch_execz .LBB1_198
; %bb.195:
	v_cmp_nlt_f32_e64 s3, 0, v5
	s_xor_b32 s10, vcc_lo, -1
	s_mov_b32 s9, -1
	s_delay_alu instid0(VALU_DEP_1) | instskip(NEXT) | instid1(SALU_CYCLE_1)
	s_or_b32 s10, s10, s3
	s_and_saveexec_b32 s3, s10
; %bb.196:
	v_cmp_lt_f32_e32 vcc_lo, 0, v6
	s_xor_b32 s9, exec_lo, -1
	s_and_b32 s2, vcc_lo, s2
	s_delay_alu instid0(SALU_CYCLE_1)
	s_and_b32 s7, s2, exec_lo
; %bb.197:
	s_or_b32 exec_lo, exec_lo, s3
	v_mov_b32_e32 v9, v7
	s_or_not1_b32 s3, s7, exec_lo
	s_and_b32 s7, s9, exec_lo
.LBB1_198:
	s_or_b32 exec_lo, exec_lo, s4
	s_delay_alu instid0(SALU_CYCLE_1)
	s_and_b32 s4, s3, exec_lo
	s_or_not1_b32 s2, s7, exec_lo
	s_or_b32 exec_lo, exec_lo, s6
	s_and_saveexec_b32 s3, s2
	s_cbranch_execnz .LBB1_259
.LBB1_199:
	s_or_b32 exec_lo, exec_lo, s3
	s_delay_alu instid0(SALU_CYCLE_1)
	s_and_b32 exec_lo, exec_lo, s4
	s_cbranch_execz .LBB1_201
.LBB1_200:
	ds_store_b32 v8, v9 offset:128
.LBB1_201:
	s_or_b32 exec_lo, exec_lo, s5
	s_delay_alu instid0(SALU_CYCLE_1)
	s_mov_b32 s5, exec_lo
	s_waitcnt lgkmcnt(0)
	s_barrier
	buffer_gl0_inv
	v_cmpx_gt_u32_e32 16, v0
	s_cbranch_execz .LBB1_210
; %bb.202:
	ds_load_2addr_b32 v[5:6], v8 offset1:16
	s_mov_b32 s4, 0
                                        ; implicit-def: $vgpr9
	s_waitcnt lgkmcnt(0)
	v_cmp_ngt_f32_e64 s2, v6, v5
	v_cmp_ngt_f32_e64 s3, 0, v6
	v_cmp_gt_f32_e32 vcc_lo, 0, v6
	s_delay_alu instid0(VALU_DEP_2)
	s_or_b32 s3, s3, s2
	s_mov_b32 s2, -1
	s_and_saveexec_b32 s6, s3
	s_cbranch_execz .LBB1_260
; %bb.203:
	v_cmp_nlt_f32_e64 s3, v6, v5
	v_cmp_ngt_f32_e64 s4, 0, v5
	v_cmp_gt_f32_e64 s2, 0, v5
	v_mov_b32_e32 v9, v7
	s_mov_b32 s7, 0
	s_delay_alu instid0(VALU_DEP_3)
	s_or_b32 s9, s3, s4
	s_mov_b32 s3, -1
	s_and_saveexec_b32 s4, s9
	s_cbranch_execz .LBB1_207
; %bb.204:
	v_cmp_nlt_f32_e64 s3, 0, v5
	s_xor_b32 s10, vcc_lo, -1
	s_mov_b32 s9, -1
	s_delay_alu instid0(VALU_DEP_1) | instskip(NEXT) | instid1(SALU_CYCLE_1)
	s_or_b32 s10, s10, s3
	s_and_saveexec_b32 s3, s10
; %bb.205:
	v_cmp_lt_f32_e32 vcc_lo, 0, v6
	s_xor_b32 s9, exec_lo, -1
	s_and_b32 s2, vcc_lo, s2
	s_delay_alu instid0(SALU_CYCLE_1)
	s_and_b32 s7, s2, exec_lo
; %bb.206:
	s_or_b32 exec_lo, exec_lo, s3
	v_mov_b32_e32 v9, v7
	s_or_not1_b32 s3, s7, exec_lo
	s_and_b32 s7, s9, exec_lo
.LBB1_207:
	s_or_b32 exec_lo, exec_lo, s4
	s_delay_alu instid0(SALU_CYCLE_1)
	s_and_b32 s4, s3, exec_lo
	s_or_not1_b32 s2, s7, exec_lo
	s_or_b32 exec_lo, exec_lo, s6
	s_and_saveexec_b32 s3, s2
	s_cbranch_execnz .LBB1_261
.LBB1_208:
	s_or_b32 exec_lo, exec_lo, s3
	s_delay_alu instid0(SALU_CYCLE_1)
	s_and_b32 exec_lo, exec_lo, s4
	s_cbranch_execz .LBB1_210
.LBB1_209:
	ds_store_b32 v8, v9 offset:64
.LBB1_210:
	s_or_b32 exec_lo, exec_lo, s5
	s_delay_alu instid0(SALU_CYCLE_1)
	s_mov_b32 s5, exec_lo
	s_waitcnt lgkmcnt(0)
	s_barrier
	buffer_gl0_inv
	v_cmpx_gt_u32_e32 8, v0
	s_cbranch_execz .LBB1_219
; %bb.211:
	ds_load_2addr_b32 v[5:6], v8 offset1:8
	s_mov_b32 s4, 0
                                        ; implicit-def: $vgpr9
	s_waitcnt lgkmcnt(0)
	v_cmp_ngt_f32_e64 s2, v6, v5
	v_cmp_ngt_f32_e64 s3, 0, v6
	v_cmp_gt_f32_e32 vcc_lo, 0, v6
	s_delay_alu instid0(VALU_DEP_2)
	s_or_b32 s3, s3, s2
	s_mov_b32 s2, -1
	s_and_saveexec_b32 s6, s3
	s_cbranch_execz .LBB1_262
; %bb.212:
	v_cmp_nlt_f32_e64 s3, v6, v5
	v_cmp_ngt_f32_e64 s4, 0, v5
	v_cmp_gt_f32_e64 s2, 0, v5
	v_mov_b32_e32 v9, v7
	s_mov_b32 s7, 0
	s_delay_alu instid0(VALU_DEP_3)
	s_or_b32 s9, s3, s4
	s_mov_b32 s3, -1
	s_and_saveexec_b32 s4, s9
	s_cbranch_execz .LBB1_216
; %bb.213:
	v_cmp_nlt_f32_e64 s3, 0, v5
	s_xor_b32 s10, vcc_lo, -1
	s_mov_b32 s9, -1
	s_delay_alu instid0(VALU_DEP_1) | instskip(NEXT) | instid1(SALU_CYCLE_1)
	s_or_b32 s10, s10, s3
	s_and_saveexec_b32 s3, s10
; %bb.214:
	v_cmp_lt_f32_e32 vcc_lo, 0, v6
	s_xor_b32 s9, exec_lo, -1
	s_and_b32 s2, vcc_lo, s2
	s_delay_alu instid0(SALU_CYCLE_1)
	s_and_b32 s7, s2, exec_lo
; %bb.215:
	s_or_b32 exec_lo, exec_lo, s3
	v_mov_b32_e32 v9, v7
	s_or_not1_b32 s3, s7, exec_lo
	s_and_b32 s7, s9, exec_lo
.LBB1_216:
	s_or_b32 exec_lo, exec_lo, s4
	s_delay_alu instid0(SALU_CYCLE_1)
	s_and_b32 s4, s3, exec_lo
	s_or_not1_b32 s2, s7, exec_lo
	s_or_b32 exec_lo, exec_lo, s6
	s_and_saveexec_b32 s3, s2
	s_cbranch_execnz .LBB1_263
.LBB1_217:
	s_or_b32 exec_lo, exec_lo, s3
	s_delay_alu instid0(SALU_CYCLE_1)
	s_and_b32 exec_lo, exec_lo, s4
	s_cbranch_execz .LBB1_219
.LBB1_218:
	ds_store_b32 v8, v9 offset:32
.LBB1_219:
	s_or_b32 exec_lo, exec_lo, s5
	s_delay_alu instid0(SALU_CYCLE_1)
	s_mov_b32 s5, exec_lo
	s_waitcnt lgkmcnt(0)
	s_barrier
	buffer_gl0_inv
	v_cmpx_gt_u32_e32 4, v0
	s_cbranch_execz .LBB1_228
; %bb.220:
	ds_load_2addr_b32 v[5:6], v8 offset1:4
	s_mov_b32 s4, 0
                                        ; implicit-def: $vgpr9
	s_waitcnt lgkmcnt(0)
	v_cmp_ngt_f32_e64 s2, v6, v5
	v_cmp_ngt_f32_e64 s3, 0, v6
	v_cmp_gt_f32_e32 vcc_lo, 0, v6
	s_delay_alu instid0(VALU_DEP_2)
	s_or_b32 s3, s3, s2
	s_mov_b32 s2, -1
	s_and_saveexec_b32 s6, s3
	s_cbranch_execz .LBB1_264
; %bb.221:
	v_cmp_nlt_f32_e64 s3, v6, v5
	v_cmp_ngt_f32_e64 s4, 0, v5
	v_cmp_gt_f32_e64 s2, 0, v5
	v_mov_b32_e32 v9, v7
	s_mov_b32 s7, 0
	s_delay_alu instid0(VALU_DEP_3)
	s_or_b32 s9, s3, s4
	s_mov_b32 s3, -1
	s_and_saveexec_b32 s4, s9
	s_cbranch_execz .LBB1_225
; %bb.222:
	v_cmp_nlt_f32_e64 s3, 0, v5
	s_xor_b32 s10, vcc_lo, -1
	s_mov_b32 s9, -1
	s_delay_alu instid0(VALU_DEP_1) | instskip(NEXT) | instid1(SALU_CYCLE_1)
	s_or_b32 s10, s10, s3
	s_and_saveexec_b32 s3, s10
; %bb.223:
	v_cmp_lt_f32_e32 vcc_lo, 0, v6
	s_xor_b32 s9, exec_lo, -1
	s_and_b32 s2, vcc_lo, s2
	s_delay_alu instid0(SALU_CYCLE_1)
	s_and_b32 s7, s2, exec_lo
; %bb.224:
	s_or_b32 exec_lo, exec_lo, s3
	v_mov_b32_e32 v9, v7
	s_or_not1_b32 s3, s7, exec_lo
	s_and_b32 s7, s9, exec_lo
.LBB1_225:
	s_or_b32 exec_lo, exec_lo, s4
	s_delay_alu instid0(SALU_CYCLE_1)
	s_and_b32 s4, s3, exec_lo
	s_or_not1_b32 s2, s7, exec_lo
	s_or_b32 exec_lo, exec_lo, s6
	s_and_saveexec_b32 s3, s2
	s_cbranch_execnz .LBB1_265
.LBB1_226:
	s_or_b32 exec_lo, exec_lo, s3
	s_delay_alu instid0(SALU_CYCLE_1)
	s_and_b32 exec_lo, exec_lo, s4
	s_cbranch_execz .LBB1_228
.LBB1_227:
	ds_store_b32 v8, v9 offset:16
.LBB1_228:
	s_or_b32 exec_lo, exec_lo, s5
	s_delay_alu instid0(SALU_CYCLE_1)
	s_mov_b32 s5, exec_lo
	s_waitcnt lgkmcnt(0)
	s_barrier
	buffer_gl0_inv
	v_cmpx_gt_u32_e32 2, v0
	s_cbranch_execz .LBB1_237
; %bb.229:
	ds_load_2addr_b32 v[5:6], v8 offset1:2
	s_mov_b32 s4, 0
                                        ; implicit-def: $vgpr9
	s_waitcnt lgkmcnt(0)
	v_cmp_ngt_f32_e64 s2, v6, v5
	v_cmp_ngt_f32_e64 s3, 0, v6
	v_cmp_gt_f32_e32 vcc_lo, 0, v6
	s_delay_alu instid0(VALU_DEP_2)
	s_or_b32 s3, s3, s2
	s_mov_b32 s2, -1
	s_and_saveexec_b32 s6, s3
	s_cbranch_execz .LBB1_266
; %bb.230:
	v_cmp_nlt_f32_e64 s3, v6, v5
	v_cmp_ngt_f32_e64 s4, 0, v5
	v_cmp_gt_f32_e64 s2, 0, v5
	v_mov_b32_e32 v9, v7
	s_mov_b32 s7, 0
	s_delay_alu instid0(VALU_DEP_3)
	s_or_b32 s9, s3, s4
	s_mov_b32 s3, -1
	s_and_saveexec_b32 s4, s9
	s_cbranch_execz .LBB1_234
; %bb.231:
	v_cmp_nlt_f32_e64 s3, 0, v5
	s_xor_b32 s10, vcc_lo, -1
	s_mov_b32 s9, -1
	s_delay_alu instid0(VALU_DEP_1) | instskip(NEXT) | instid1(SALU_CYCLE_1)
	s_or_b32 s10, s10, s3
	s_and_saveexec_b32 s3, s10
; %bb.232:
	v_cmp_lt_f32_e32 vcc_lo, 0, v6
	s_xor_b32 s9, exec_lo, -1
	s_and_b32 s2, vcc_lo, s2
	s_delay_alu instid0(SALU_CYCLE_1)
	s_and_b32 s7, s2, exec_lo
; %bb.233:
	s_or_b32 exec_lo, exec_lo, s3
	v_mov_b32_e32 v9, v7
	s_or_not1_b32 s3, s7, exec_lo
	s_and_b32 s7, s9, exec_lo
.LBB1_234:
	s_or_b32 exec_lo, exec_lo, s4
	s_delay_alu instid0(SALU_CYCLE_1)
	s_and_b32 s4, s3, exec_lo
	s_or_not1_b32 s2, s7, exec_lo
	s_or_b32 exec_lo, exec_lo, s6
	s_and_saveexec_b32 s3, s2
	s_cbranch_execnz .LBB1_267
.LBB1_235:
	s_or_b32 exec_lo, exec_lo, s3
	s_delay_alu instid0(SALU_CYCLE_1)
	s_and_b32 exec_lo, exec_lo, s4
	s_cbranch_execz .LBB1_237
.LBB1_236:
	ds_store_b32 v8, v9 offset:8
.LBB1_237:
	s_or_b32 exec_lo, exec_lo, s5
	v_cmp_eq_u32_e32 vcc_lo, 0, v0
	s_waitcnt lgkmcnt(0)
	s_barrier
	buffer_gl0_inv
	s_and_saveexec_b32 s6, vcc_lo
	s_cbranch_execz .LBB1_246
; %bb.238:
	v_mov_b32_e32 v5, 0
	s_mov_b32 s5, 0
	ds_load_b32 v5, v5 offset:4
	ds_load_b32 v6, v8
	s_waitcnt lgkmcnt(1)
	v_cmp_ngt_f32_e64 s4, 0, v5
	s_waitcnt lgkmcnt(0)
	v_cmp_ngt_f32_e64 s3, v5, v6
	v_cmp_gt_f32_e64 s2, 0, v5
	s_delay_alu instid0(VALU_DEP_2)
	s_or_b32 s4, s4, s3
	s_mov_b32 s3, -1
	s_and_saveexec_b32 s7, s4
	s_cbranch_execz .LBB1_268
; %bb.239:
	v_cmp_nlt_f32_e64 s4, v5, v6
	v_cmp_ngt_f32_e64 s5, 0, v6
	v_cmp_gt_f32_e64 s3, 0, v6
	s_mov_b32 s9, 0
	s_delay_alu instid0(VALU_DEP_2)
	s_or_b32 s10, s4, s5
	s_mov_b32 s4, -1
	s_and_saveexec_b32 s5, s10
	s_cbranch_execz .LBB1_243
; %bb.240:
	v_cmp_nlt_f32_e64 s4, 0, v6
	s_xor_b32 s10, s2, -1
	s_mov_b32 s2, -1
	s_delay_alu instid0(VALU_DEP_1) | instskip(NEXT) | instid1(SALU_CYCLE_1)
	s_or_b32 s10, s10, s4
	s_and_saveexec_b32 s4, s10
; %bb.241:
	v_cmp_lt_f32_e64 s2, 0, v5
	s_delay_alu instid0(VALU_DEP_1) | instskip(NEXT) | instid1(SALU_CYCLE_1)
	s_and_b32 s2, s2, s3
	s_and_b32 s9, s2, exec_lo
	s_xor_b32 s2, exec_lo, -1
; %bb.242:
	s_or_b32 exec_lo, exec_lo, s4
	s_delay_alu instid0(SALU_CYCLE_1)
	s_or_not1_b32 s4, s9, exec_lo
	s_and_b32 s9, s2, exec_lo
.LBB1_243:
	s_or_b32 exec_lo, exec_lo, s5
	s_delay_alu instid0(SALU_CYCLE_1)
	s_and_b32 s5, s4, exec_lo
	s_or_not1_b32 s3, s9, exec_lo
	s_or_b32 exec_lo, exec_lo, s7
	s_and_saveexec_b32 s2, s3
	s_cbranch_execnz .LBB1_269
.LBB1_244:
	s_or_b32 exec_lo, exec_lo, s2
	s_delay_alu instid0(SALU_CYCLE_1)
	s_and_b32 exec_lo, exec_lo, s5
	s_cbranch_execz .LBB1_246
.LBB1_245:
	v_mov_b32_e32 v5, 0
	ds_store_b32 v5, v7 offset:4
.LBB1_246:
	s_or_b32 exec_lo, exec_lo, s6
	s_load_b128 s[0:3], s[0:1], 0x20
	s_waitcnt lgkmcnt(0)
	s_barrier
	buffer_gl0_inv
	s_and_saveexec_b32 s4, vcc_lo
	s_cbranch_execz .LBB1_251
; %bb.247:
	v_mov_b32_e32 v8, 0
	s_mov_b32 s9, 0
	s_delay_alu instid0(SALU_CYCLE_1) | instskip(NEXT) | instid1(SALU_CYCLE_1)
	s_lshl_b64 s[6:7], s[8:9], 2
	s_add_u32 s0, s0, s6
	ds_load_2addr_b32 v[6:7], v8 offset1:1
	s_addc_u32 s1, s1, s7
	s_waitcnt lgkmcnt(0)
	v_cvt_i32_f32_e32 v5, v7
	global_store_b32 v8, v6, s[0:1]
	v_cmp_lt_u32_e32 vcc_lo, 0x7f, v5
	s_cbranch_vccnz .LBB1_250
; %bb.248:
	s_mov_b32 s0, 1
.LBB1_249:                              ; =>This Inner Loop Header: Depth=1
	s_delay_alu instid0(SALU_CYCLE_1) | instskip(SKIP_3) | instid1(VALU_DEP_1)
	v_cvt_f32_u32_e32 v6, s0
	s_add_i32 s1, s0, 1
	s_cmp_lt_u32 s0, 6
	s_cselect_b32 s0, -1, 0
	v_mul_f32_e32 v7, 0x3f317218, v6
	s_delay_alu instid0(VALU_DEP_1) | instskip(SKIP_1) | instid1(VALU_DEP_2)
	v_fma_f32 v8, 0x3f317218, v6, -v7
	v_cmp_eq_f32_e32 vcc_lo, 0x7f800000, v7
	v_fmac_f32_e32 v8, 0xb102e308, v6
	s_delay_alu instid0(VALU_DEP_1) | instskip(NEXT) | instid1(VALU_DEP_1)
	v_add_f32_e32 v6, v7, v8
	v_cndmask_b32_e32 v9, v6, v7, vcc_lo
	s_delay_alu instid0(VALU_DEP_1) | instskip(SKIP_2) | instid1(VALU_DEP_2)
	v_cmp_eq_f32_e32 vcc_lo, 0x42b17218, v9
	v_cndmask_b32_e64 v10, 0, 0x37000000, vcc_lo
	v_cmp_neq_f32_e64 vcc_lo, 0x7f800000, |v9|
	v_sub_f32_e32 v11, v9, v10
	s_delay_alu instid0(VALU_DEP_1) | instskip(NEXT) | instid1(VALU_DEP_1)
	v_mul_f32_e32 v12, 0x3fb8aa3b, v11
	v_fma_f32 v13, 0x3fb8aa3b, v11, -v12
	v_rndne_f32_e32 v14, v12
	s_delay_alu instid0(VALU_DEP_1) | instskip(NEXT) | instid1(VALU_DEP_1)
	v_dual_fmac_f32 v13, 0x32a5705f, v11 :: v_dual_sub_f32 v12, v12, v14
	v_add_f32_e32 v12, v12, v13
	v_sub_f32_e32 v6, v6, v7
	v_cvt_i32_f32_e32 v7, v14
	s_delay_alu instid0(VALU_DEP_3) | instskip(SKIP_3) | instid1(VALU_DEP_1)
	v_exp_f32_e32 v12, v12
	s_waitcnt_depctr 0xfff
	v_ldexp_f32 v7, v12, v7
	v_sub_f32_e32 v6, v8, v6
	v_cndmask_b32_e32 v6, 0, v6, vcc_lo
	v_cmp_ngt_f32_e32 vcc_lo, 0xc2ce8ed0, v11
	s_delay_alu instid0(VALU_DEP_4) | instskip(SKIP_1) | instid1(VALU_DEP_2)
	v_cndmask_b32_e32 v7, 0, v7, vcc_lo
	v_cmp_nlt_f32_e32 vcc_lo, 0x42b17218, v11
	v_dual_add_f32 v6, v10, v6 :: v_dual_cndmask_b32 v7, 0x7f800000, v7
	s_delay_alu instid0(VALU_DEP_1) | instskip(SKIP_1) | instid1(VALU_DEP_2)
	v_fma_f32 v6, v7, v6, v7
	v_cmp_class_f32_e64 vcc_lo, v7, 0x204
	v_cndmask_b32_e32 v6, v6, v7, vcc_lo
	s_delay_alu instid0(VALU_DEP_1) | instskip(NEXT) | instid1(VALU_DEP_1)
	v_cvt_i32_f32_e64 v6, |v6|
	v_add_nc_u32_e32 v5, v5, v6
	s_delay_alu instid0(VALU_DEP_1) | instskip(NEXT) | instid1(VALU_DEP_1)
	v_lshlrev_b32_e32 v5, 2, v5
	v_add_nc_u32_e32 v5, 0, v5
	ds_load_b32 v5, v5
	s_waitcnt lgkmcnt(0)
	v_cvt_i32_f32_e32 v5, v5
	s_delay_alu instid0(VALU_DEP_1) | instskip(SKIP_1) | instid1(SALU_CYCLE_1)
	v_cmp_gt_u32_e32 vcc_lo, 0x80, v5
	s_and_b32 s0, s0, vcc_lo
	s_and_b32 vcc_lo, exec_lo, s0
	s_mov_b32 s0, s1
	s_cbranch_vccnz .LBB1_249
.LBB1_250:
	v_cvt_f32_i32_e32 v5, v5
	v_mov_b32_e32 v6, 0
	ds_store_b32 v6, v5
.LBB1_251:
	s_or_b32 exec_lo, exec_lo, s4
	v_mov_b32_e32 v5, 0
	s_waitcnt lgkmcnt(0)
	s_waitcnt_vscnt null, 0x0
	s_barrier
	buffer_gl0_inv
	s_mov_b32 s1, 0
	ds_load_b32 v6, v5
	s_mov_b32 s0, exec_lo
	s_waitcnt lgkmcnt(0)
	v_cvt_i32_f32_e32 v6, v6
	s_delay_alu instid0(VALU_DEP_1)
	v_cmpx_eq_u32_e64 v0, v6
	s_cbranch_execz .LBB1_253
; %bb.252:
	s_lshl_b32 s0, s8, 2
	s_delay_alu instid0(SALU_CYCLE_1) | instskip(NEXT) | instid1(SALU_CYCLE_1)
	s_lshl_b64 s[0:1], s[0:1], 2
	s_add_u32 s0, s2, s0
	s_addc_u32 s1, s3, s1
	global_store_b128 v5, v[1:4], s[0:1]
.LBB1_253:
	s_nop 0
	s_sendmsg sendmsg(MSG_DEALLOC_VGPRS)
	s_endpgm
.LBB1_254:
	s_or_b32 exec_lo, exec_lo, s6
	s_and_saveexec_b32 s3, s2
	s_cbranch_execz .LBB1_181
.LBB1_255:
	v_or_b32_e32 v5, 0x80, v0
	s_or_b32 s4, s4, exec_lo
	ds_store_b32 v8, v6
	v_cvt_f32_u32_e32 v9, v5
	s_or_b32 exec_lo, exec_lo, s3
	s_delay_alu instid0(SALU_CYCLE_1)
	s_and_b32 exec_lo, exec_lo, s4
	s_cbranch_execnz .LBB1_182
	s_branch .LBB1_183
.LBB1_256:
	s_or_b32 exec_lo, exec_lo, s6
	s_and_saveexec_b32 s3, s2
	s_cbranch_execz .LBB1_190
.LBB1_257:
	v_or_b32_e32 v5, 64, v0
	s_or_b32 s4, s4, exec_lo
	ds_store_b32 v8, v6
	v_cvt_f32_u32_e32 v9, v5
	s_or_b32 exec_lo, exec_lo, s3
	s_delay_alu instid0(SALU_CYCLE_1)
	s_and_b32 exec_lo, exec_lo, s4
	s_cbranch_execnz .LBB1_191
	s_branch .LBB1_192
.LBB1_258:
	s_or_b32 exec_lo, exec_lo, s6
	s_and_saveexec_b32 s3, s2
	s_cbranch_execz .LBB1_199
.LBB1_259:
	v_or_b32_e32 v5, 32, v0
	s_or_b32 s4, s4, exec_lo
	ds_store_b32 v8, v6
	v_cvt_f32_u32_e32 v9, v5
	s_or_b32 exec_lo, exec_lo, s3
	s_delay_alu instid0(SALU_CYCLE_1)
	s_and_b32 exec_lo, exec_lo, s4
	s_cbranch_execnz .LBB1_200
	s_branch .LBB1_201
.LBB1_260:
	s_or_b32 exec_lo, exec_lo, s6
	s_and_saveexec_b32 s3, s2
	s_cbranch_execz .LBB1_208
.LBB1_261:
	v_or_b32_e32 v5, 16, v0
	s_or_b32 s4, s4, exec_lo
	ds_store_b32 v8, v6
	v_cvt_f32_u32_e32 v9, v5
	s_or_b32 exec_lo, exec_lo, s3
	s_delay_alu instid0(SALU_CYCLE_1)
	s_and_b32 exec_lo, exec_lo, s4
	s_cbranch_execnz .LBB1_209
	s_branch .LBB1_210
.LBB1_262:
	s_or_b32 exec_lo, exec_lo, s6
	s_and_saveexec_b32 s3, s2
	s_cbranch_execz .LBB1_217
.LBB1_263:
	v_or_b32_e32 v5, 8, v0
	s_or_b32 s4, s4, exec_lo
	ds_store_b32 v8, v6
	v_cvt_f32_u32_e32 v9, v5
	s_or_b32 exec_lo, exec_lo, s3
	s_delay_alu instid0(SALU_CYCLE_1)
	s_and_b32 exec_lo, exec_lo, s4
	s_cbranch_execnz .LBB1_218
	s_branch .LBB1_219
.LBB1_264:
	s_or_b32 exec_lo, exec_lo, s6
	s_and_saveexec_b32 s3, s2
	s_cbranch_execz .LBB1_226
.LBB1_265:
	v_or_b32_e32 v5, 4, v0
	s_or_b32 s4, s4, exec_lo
	ds_store_b32 v8, v6
	v_cvt_f32_u32_e32 v9, v5
	s_or_b32 exec_lo, exec_lo, s3
	s_delay_alu instid0(SALU_CYCLE_1)
	s_and_b32 exec_lo, exec_lo, s4
	s_cbranch_execnz .LBB1_227
	s_branch .LBB1_228
.LBB1_266:
	s_or_b32 exec_lo, exec_lo, s6
	s_and_saveexec_b32 s3, s2
	s_cbranch_execz .LBB1_235
.LBB1_267:
	v_or_b32_e32 v5, 2, v0
	s_or_b32 s4, s4, exec_lo
	ds_store_b32 v8, v6
	v_cvt_f32_u32_e32 v9, v5
	s_or_b32 exec_lo, exec_lo, s3
	s_delay_alu instid0(SALU_CYCLE_1)
	s_and_b32 exec_lo, exec_lo, s4
	s_cbranch_execnz .LBB1_236
	s_branch .LBB1_237
.LBB1_268:
	s_or_b32 exec_lo, exec_lo, s7
	s_and_saveexec_b32 s2, s3
	s_cbranch_execz .LBB1_244
.LBB1_269:
	v_mov_b32_e32 v7, 1.0
	s_or_b32 s5, s5, exec_lo
	ds_store_b32 v8, v5
	s_or_b32 exec_lo, exec_lo, s2
	s_delay_alu instid0(SALU_CYCLE_1)
	s_and_b32 exec_lo, exec_lo, s5
	s_cbranch_execnz .LBB1_245
	s_branch .LBB1_246
	.section	.rodata,"a",@progbits
	.p2align	6, 0x0
	.amdhsa_kernel _Z13computeKerneliiPKfPKbiiPfPi
		.amdhsa_group_segment_fixed_size 0
		.amdhsa_private_segment_fixed_size 224
		.amdhsa_kernarg_size 48
		.amdhsa_user_sgpr_count 15
		.amdhsa_user_sgpr_dispatch_ptr 0
		.amdhsa_user_sgpr_queue_ptr 0
		.amdhsa_user_sgpr_kernarg_segment_ptr 1
		.amdhsa_user_sgpr_dispatch_id 0
		.amdhsa_user_sgpr_private_segment_size 0
		.amdhsa_wavefront_size32 1
		.amdhsa_uses_dynamic_stack 0
		.amdhsa_enable_private_segment 1
		.amdhsa_system_sgpr_workgroup_id_x 1
		.amdhsa_system_sgpr_workgroup_id_y 0
		.amdhsa_system_sgpr_workgroup_id_z 0
		.amdhsa_system_sgpr_workgroup_info 0
		.amdhsa_system_vgpr_workitem_id 0
		.amdhsa_next_free_vgpr 30
		.amdhsa_next_free_sgpr 27
		.amdhsa_reserve_vcc 1
		.amdhsa_float_round_mode_32 0
		.amdhsa_float_round_mode_16_64 0
		.amdhsa_float_denorm_mode_32 3
		.amdhsa_float_denorm_mode_16_64 3
		.amdhsa_dx10_clamp 1
		.amdhsa_ieee_mode 1
		.amdhsa_fp16_overflow 0
		.amdhsa_workgroup_processor_mode 1
		.amdhsa_memory_ordered 1
		.amdhsa_forward_progress 0
		.amdhsa_shared_vgpr_count 0
		.amdhsa_exception_fp_ieee_invalid_op 0
		.amdhsa_exception_fp_denorm_src 0
		.amdhsa_exception_fp_ieee_div_zero 0
		.amdhsa_exception_fp_ieee_overflow 0
		.amdhsa_exception_fp_ieee_underflow 0
		.amdhsa_exception_fp_ieee_inexact 0
		.amdhsa_exception_int_div_zero 0
	.end_amdhsa_kernel
	.text
.Lfunc_end1:
	.size	_Z13computeKerneliiPKfPKbiiPfPi, .Lfunc_end1-_Z13computeKerneliiPKfPKbiiPfPi
                                        ; -- End function
	.section	.AMDGPU.csdata,"",@progbits
; Kernel info:
; codeLenInByte = 8596
; NumSgprs: 29
; NumVgprs: 30
; ScratchSize: 224
; MemoryBound: 0
; FloatMode: 240
; IeeeMode: 1
; LDSByteSize: 0 bytes/workgroup (compile time only)
; SGPRBlocks: 3
; VGPRBlocks: 3
; NumSGPRsForWavesPerEU: 29
; NumVGPRsForWavesPerEU: 30
; Occupancy: 16
; WaveLimiterHint : 0
; COMPUTE_PGM_RSRC2:SCRATCH_EN: 1
; COMPUTE_PGM_RSRC2:USER_SGPR: 15
; COMPUTE_PGM_RSRC2:TRAP_HANDLER: 0
; COMPUTE_PGM_RSRC2:TGID_X_EN: 1
; COMPUTE_PGM_RSRC2:TGID_Y_EN: 0
; COMPUTE_PGM_RSRC2:TGID_Z_EN: 0
; COMPUTE_PGM_RSRC2:TIDIG_COMP_CNT: 0
	.text
	.p2alignl 7, 3214868480
	.fill 96, 4, 3214868480
	.type	__const._Z13computeKerneliiPKfPKbiiPfPi.parent,@object ; @__const._Z13computeKerneliiPKfPKbiiPfPi.parent
	.section	.rodata,"a",@progbits
	.p2align	4, 0x0
__const._Z13computeKerneliiPKfPKbiiPfPi.parent:
	.long	4294967295                      ; 0xffffffff
	.long	0                               ; 0x0
	.long	0                               ; 0x0
	;; [unrolled: 1-line block ×4, first 2 shown]
	.size	__const._Z13computeKerneliiPKfPKbiiPfPi.parent, 20

	.type	__hip_cuid_b4d7e52fd1f8f1c1,@object ; @__hip_cuid_b4d7e52fd1f8f1c1
	.section	.bss,"aw",@nobits
	.globl	__hip_cuid_b4d7e52fd1f8f1c1
__hip_cuid_b4d7e52fd1f8f1c1:
	.byte	0                               ; 0x0
	.size	__hip_cuid_b4d7e52fd1f8f1c1, 1

	.ident	"AMD clang version 19.0.0git (https://github.com/RadeonOpenCompute/llvm-project roc-6.4.0 25133 c7fe45cf4b819c5991fe208aaa96edf142730f1d)"
	.section	".note.GNU-stack","",@progbits
	.addrsig
	.addrsig_sym __hip_cuid_b4d7e52fd1f8f1c1
	.amdgpu_metadata
---
amdhsa.kernels:
  - .args:
      - .offset:         0
        .size:           4
        .value_kind:     by_value
      - .address_space:  global
        .offset:         8
        .size:           8
        .value_kind:     global_buffer
      - .address_space:  global
        .offset:         16
        .size:           8
        .value_kind:     global_buffer
      - .address_space:  global
        .offset:         24
        .size:           8
        .value_kind:     global_buffer
    .group_segment_fixed_size: 0
    .kernarg_segment_align: 8
    .kernarg_segment_size: 32
    .language:       OpenCL C
    .language_version:
      - 2
      - 0
    .max_flat_workgroup_size: 1024
    .name:           _Z14genScoreKerneliPfPKiPKf
    .private_segment_fixed_size: 192
    .sgpr_count:     38
    .sgpr_spill_count: 0
    .symbol:         _Z14genScoreKerneliPfPKiPKf.kd
    .uniform_work_group_size: 1
    .uses_dynamic_stack: false
    .vgpr_count:     68
    .vgpr_spill_count: 0
    .wavefront_size: 32
    .workgroup_processor_mode: 1
  - .args:
      - .offset:         0
        .size:           4
        .value_kind:     by_value
      - .offset:         4
        .size:           4
        .value_kind:     by_value
      - .address_space:  global
        .offset:         8
        .size:           8
        .value_kind:     global_buffer
      - .address_space:  global
        .offset:         16
        .size:           8
        .value_kind:     global_buffer
      - .offset:         24
        .size:           4
        .value_kind:     by_value
      - .offset:         28
        .size:           4
        .value_kind:     by_value
      - .address_space:  global
        .offset:         32
        .size:           8
        .value_kind:     global_buffer
      - .address_space:  global
        .offset:         40
        .size:           8
        .value_kind:     global_buffer
    .group_segment_fixed_size: 0
    .kernarg_segment_align: 8
    .kernarg_segment_size: 48
    .language:       OpenCL C
    .language_version:
      - 2
      - 0
    .max_flat_workgroup_size: 1024
    .name:           _Z13computeKerneliiPKfPKbiiPfPi
    .private_segment_fixed_size: 224
    .sgpr_count:     29
    .sgpr_spill_count: 0
    .symbol:         _Z13computeKerneliiPKfPKbiiPfPi.kd
    .uniform_work_group_size: 1
    .uses_dynamic_stack: false
    .vgpr_count:     30
    .vgpr_spill_count: 0
    .wavefront_size: 32
    .workgroup_processor_mode: 1
amdhsa.target:   amdgcn-amd-amdhsa--gfx1100
amdhsa.version:
  - 1
  - 2
...

	.end_amdgpu_metadata
